;; amdgpu-corpus repo=ROCm/aiter kind=harvested arch=n/a opt=n/a

/root/src/amdgpu-assembly/repos/ROCm__aiter/hsa/gfx950/mla/MLA_A16W16_1TG_4W_16mx4_32nx1_Coex0_Msk1_QH16.co:	file format elf64-amdgpu

Disassembly of section .text:

0000000000002500 <_ZN5aiter39mla_a16w16_qh16_m16x4_n32x1_coex0_mask1E>:
	s_and_b32 s1, s1, 0xffff                                   // 000000002500: 8601FF01 0000FFFF
	s_load_dwordx2 s[8:9], s[0:1], 0x0                         // 000000002508: C0060200 00000000
	s_load_dwordx2 s[12:13], s[0:1], 0x10                      // 000000002510: C0060300 00000010
	s_load_dwordx2 s[16:17], s[0:1], 0x20                      // 000000002518: C0060400 00000020
	s_load_dwordx2 s[20:21], s[0:1], 0x30                      // 000000002520: C0060500 00000030
	s_load_dwordx2 s[28:29], s[0:1], 0x40                      // 000000002528: C0060700 00000040
	s_load_dwordx2 s[24:25], s[0:1], 0x50                      // 000000002530: C0060600 00000050
	s_load_dwordx2 s[30:31], s[0:1], 0x60                      // 000000002538: C0060780 00000060
	s_load_dword s64, s[0:1], 0x70                             // 000000002540: C0021000 00000070
	s_load_dword s65, s[0:1], 0x80                             // 000000002548: C0021040 00000080
	s_load_dword s92, s[0:1], 0x90                             // 000000002550: C0021700 00000090
	s_load_dword s66, s[0:1], 0xa0                             // 000000002558: C0021080 000000A0
	s_load_dword s68, s[0:1], 0xb0                             // 000000002560: C0021100 000000B0
	s_load_dword s69, s[0:1], 0xc0                             // 000000002568: C0021140 000000C0
	s_load_dwordx2 s[32:33], s[0:1], 0xd0                      // 000000002570: C0060800 000000D0
	s_load_dwordx2 s[88:89], s[0:1], 0xe0                      // 000000002578: C0061600 000000E0
	s_load_dwordx2 s[96:97], s[0:1], 0x130                     // 000000002580: C0061800 00000130
	v_lshrrev_b32_e32 v1, 10, v0                               // 000000002588: 2002008A
	v_lshrrev_b32_e32 v2, 10, v1                               // 00000000258C: 2004028A
	v_and_b32_e32 v2, 0x3ff, v2                                // 000000002590: 260404FF 000003FF
	v_and_b32_e32 v1, 0x3ff, v1                                // 000000002598: 260202FF 000003FF
	v_and_b32_e32 v0, 0x3ff, v0                                // 0000000025A0: 260000FF 000003FF
	v_lshrrev_b32_e32 v3, 6, v0                                // 0000000025A8: 20060086
	v_and_b32_e32 v0, 63, v0                                   // 0000000025AC: 260000BF
	s_mov_b32 s2, s2                                           // 0000000025B0: BE820002
	s_mov_b32 s3, s3                                           // 0000000025B4: BE830003
	s_mov_b32 s4, s4                                           // 0000000025B8: BE840004
	v_readfirstlane_b32 s7, v3                                 // 0000000025BC: 7E0E0503
	s_waitcnt lgkmcnt(0)                                       // 0000000025C0: BF8CC07F
	s_min_u32 s76, 16, s65                                     // 0000000025C4: 83CC4190
	s_mul_i32 s56, s3, 4                                       // 0000000025C8: 92388403
	s_and_b32 s29, s29, 0xffff                                 // 0000000025CC: 861DFF1D 0000FFFF
	s_and_b32 s31, s31, 0xffff                                 // 0000000025D4: 861FFF1F 0000FFFF
	s_add_u32 s28, s56, s28                                    // 0000000025DC: 801C1C38
	s_addc_u32 s29, 0, s29                                     // 0000000025E0: 821D1D80
	s_load_dword s47, s[28:29], 0x0                            // 0000000025E4: C0020BCE 00000000
	s_load_dword s46, s[28:29], 0x4                            // 0000000025EC: C0020B8E 00000004
	s_mul_i32 s56, s3, 4                                       // 0000000025F4: 92388403
	s_and_b32 s89, s89, 0xffff                                 // 0000000025F8: 8659FF59 0000FFFF
	s_add_u32 s88, s56, s88                                    // 000000002600: 80585838
	s_addc_u32 s89, 0, s89                                     // 000000002604: 82595980
	s_load_dword s86, s[88:89], 0x0                            // 000000002608: C00215AC 00000000
	s_load_dword s85, s[88:89], 0x4                            // 000000002610: C002156C 00000004
	s_and_b32 s33, s33, 0xffff                                 // 000000002618: 8621FF21 0000FFFF
	s_add_u32 s32, s56, s32                                    // 000000002620: 80202038
	s_addc_u32 s33, 0, s33                                     // 000000002624: 82212180
	s_load_dword s79, s[32:33], 0x0                            // 000000002628: C00213D0 00000000
	s_load_dword s78, s[32:33], 0x4                            // 000000002630: C0021390 00000004
	s_waitcnt lgkmcnt(0)                                       // 000000002638: BF8CC07F
	s_sub_u32 s87, s85, s86                                    // 00000000263C: 80D75655
	s_cmp_le_u32 s87, s4                                       // 000000002640: BF0B0457
	s_cbranch_scc1 label_C954                                  // 000000002644: BF853181
	s_mov_b32 s67, s87                                         // 000000002648: BEC30057
	s_sub_u32 s81, s78, s79                                    // 00000000264C: 80D14F4E
	s_lshl_b32 s80, s2, 6                                      // 000000002650: 8E508602
	s_cmp_le_u32 s65, s80                                      // 000000002654: BF0B5041
	s_cbranch_scc1 label_C954                                  // 000000002658: BF85317C
	s_sub_u32 s80, s65, s80                                    // 00000000265C: 80D05041
	s_min_u32 s80, s80, 64                                     // 000000002660: 83D0C050
	s_mul_i32 s56, 0x800, s65                                  // 000000002664: 923841FF 00000800
	s_mul_i32 s57, 0x400, s65                                  // 00000000266C: 923941FF 00000400
	s_cmp_eq_u32 s67, 1                                        // 000000002674: BF068143
	s_cselect_b32 s75, s57, s56                                // 000000002678: 854B3839
	s_mul_i32 s74, 0x480, s65                                  // 00000000267C: 924A41FF 00000480
	s_mul_i32 s56, 4, s65                                      // 000000002684: 92384184
	s_mov_b32 s10, s75                                         // 000000002688: BE8A004B
	s_mov_b32 s18, s74                                         // 00000000268C: BE92004A
	s_mov_b32 s14, s56                                         // 000000002690: BE8E0038
	s_or_b32 s57, s96, s97                                     // 000000002694: 87396160
	s_cmp_lg_u32 s57, 0                                        // 000000002698: BF078039
	s_cselect_b32 s95, 0, 1                                    // 00000000269C: 855F8180
	s_cselect_b32 s57, s56, 0                                  // 0000000026A0: 85398038
	s_lshr_b32 s58, s80, 4                                     // 0000000026A4: 8F3A8450
	s_cmp_lt_u32 s7, s58                                       // 0000000026A8: BF0A3A07
	s_cselect_b32 s98, s57, 0                                  // 0000000026AC: 85628039
	s_mov_b32 s22, -16                                         // 0000000026B0: BE9600D0
	s_mov_b32 s26, -16                                         // 0000000026B4: BE9A00D0
	s_mov_b32 s11, 0x20000                                     // 0000000026B8: BE8B00FF 00020000
	s_mov_b32 s19, 0x20000                                     // 0000000026C0: BE9300FF 00020000
	s_mov_b32 s15, 0x20000                                     // 0000000026C8: BE8F00FF 00020000
	s_mov_b32 s99, 0x20000                                     // 0000000026D0: BEE300FF 00020000
	s_mov_b32 s23, 0x20000                                     // 0000000026D8: BE9700FF 00020000
	s_mov_b32 s27, 0x20000                                     // 0000000026E0: BE9B00FF 00020000
	s_and_b32 s9, s9, 0xffff                                   // 0000000026E8: 8609FF09 0000FFFF
	s_and_b32 s17, s17, 0xffff                                 // 0000000026F0: 8611FF11 0000FFFF
	s_and_b32 s13, s13, 0xffff                                 // 0000000026F8: 860DFF0D 0000FFFF
	s_and_b32 s97, s97, 0xffff                                 // 000000002700: 8661FF61 0000FFFF
	s_and_b32 s21, s21, 0xffff                                 // 000000002708: 8615FF15 0000FFFF
	s_and_b32 s25, s25, 0xffff                                 // 000000002710: 8619FF19 0000FFFF
	s_or_b32 s9, s9, 0x40000                                   // 000000002718: 8709FF09 00040000
	s_or_b32 s17, s17, 0x40000                                 // 000000002720: 8711FF11 00040000
	s_or_b32 s13, s13, 0x40000                                 // 000000002728: 870DFF0D 00040000
	s_or_b32 s97, s97, 0x40000                                 // 000000002730: 8761FF61 00040000
	s_or_b32 s21, s21, 0x40000                                 // 000000002738: 8715FF15 00040000
	s_or_b32 s25, s25, 0x40000                                 // 000000002740: 8719FF19 00040000
	s_waitcnt lgkmcnt(0)                                       // 000000002748: BF8CC07F
	s_mov_b32 s69, 0                                           // 00000000274C: BEC50080
	s_lshr_b32 s44, 32, s69                                    // 000000002750: 8F2C45A0
	s_mul_i32 s73, s44, 4                                      // 000000002754: 9249842C
	s_mul_i32 s73, s73, s67                                    // 000000002758: 92494349
	s_mul_i32 s45, s4, s44                                     // 00000000275C: 922D2C04
	s_sub_u32 s50, s46, s47                                    // 000000002760: 80B22F2E
	s_sub_u32 s82, s50, s81                                    // 000000002764: 80D25132
	s_mov_b32 s83, 31                                          // 000000002768: BED3009F
	s_add_u32 s83, s83, s45                                    // 00000000276C: 80532D53
	s_mul_i32 s84, s67, 32                                     // 000000002770: 9254A043
	s_cmp_le_u32 s50, s45                                      // 000000002774: BF0B2D32
	s_cbranch_scc1 label_C954                                  // 000000002778: BF853134
	s_mul_i32 s56, s50, 4                                      // 00000000277C: 92388432
	s_mov_b32 s26, s56                                         // 000000002780: BE9A0038
	s_mul_i32 s56, s47, 4                                      // 000000002784: 9238842F
	s_add_u32 s24, s56, s24                                    // 000000002788: 80181838
	s_addc_u32 s25, 0, s25                                     // 00000000278C: 82191980
	s_mov_b32 s70, 0                                           // 000000002790: BEC60080
	s_sub_u32 s71, s50, s45                                    // 000000002794: 80C72D32
	s_mul_i32 s37, s67, s44                                    // 000000002798: 92252C43
	s_mov_b32 s36, s71                                         // 00000000279C: BEA40047
	v_cvt_f32_u32_e32 v28, s37                                 // 0000000027A0: 7E380C25
	s_sub_i32 s56, 0, s37                                      // 0000000027A4: 81B82580
	v_rcp_iflag_f32_e32 v28, v28                               // 0000000027A8: 7E38471C
	s_nop 0                                                    // 0000000027AC: BF800000
	v_mul_f32_e32 v28, 0x4f7ffffe, v28                         // 0000000027B0: 0A3838FF 4F7FFFFE
	v_cvt_u32_f32_e32 v28, v28                                 // 0000000027B8: 7E380F1C
	v_mul_lo_u32 v29, s56, v28                                 // 0000000027BC: D285001D 00023838
	v_mul_hi_u32 v29, v28, v29                                 // 0000000027C4: D286001D 00023B1C
	v_add_u32_e32 v28, v28, v29                                // 0000000027CC: 68383B1C
	v_mul_hi_u32 v28, s36, v28                                 // 0000000027D0: D286001C 00023824
	v_mul_lo_u32 v29, v28, s37                                 // 0000000027D8: D285001D 00004B1C
	v_sub_u32_e32 v31, s36, v29                                // 0000000027E0: 6A3E3A24
	v_add_u32_e32 v30, 1, v28                                  // 0000000027E4: 683C3881
	v_cmp_le_u32_e32 vcc, s37, v31                             // 0000000027E8: 7D963E25
	v_subrev_u32_e32 v29, s37, v31                             // 0000000027EC: 6C3A3E25
	s_nop 0                                                    // 0000000027F0: BF800000
	v_cndmask_b32_e32 v28, v28, v30, vcc                       // 0000000027F4: 00383D1C
	v_cndmask_b32_e32 v31, v31, v29, vcc                       // 0000000027F8: 003E3B1F
	v_add_u32_e32 v29, 1, v28                                  // 0000000027FC: 683A3881
	v_cmp_le_u32_e32 vcc, s37, v31                             // 000000002800: 7D963E25
	s_nop 1                                                    // 000000002804: BF800001
	v_cndmask_b32_e32 v31, v28, v29, vcc                       // 000000002808: 003E3B1C
	s_nop 3                                                    // 00000000280C: BF800003
	v_readfirstlane_b32 s38, v31                               // 000000002810: 7E4C051F
	s_nop 3                                                    // 000000002814: BF800003
	s_mov_b32 s71, s38                                         // 000000002818: BEC70026
	s_mul_i32 s56, s71, s37                                    // 00000000281C: 92382547
	s_sub_u32 s56, s36, s56                                    // 000000002820: 80B83824
	s_mov_b32 s57, 0                                           // 000000002824: BEB90080
	s_cmp_lt_u32 s56, s44                                      // 000000002828: BF0A2C38
	s_cselect_b32 s57, s57, 1                                  // 00000000282C: 85398139
	s_add_u32 s71, s57, s71                                    // 000000002830: 80474739
	s_cmpk_eq_u32 s57, 0x1                                     // 000000002834: B4390001
	s_cselect_b32 s49, 0, s56                                  // 000000002838: 85313880
	s_mov_b32 s48, s49                                         // 00000000283C: BEB00031
	v_lshrrev_b32_e32 v28, 2, v0                               // 000000002840: 20380082
	s_lshr_b32 s57, s7, 1                                      // 000000002844: 8F398107
	s_mul_i32 s56, 16, s57                                     // 000000002848: 92383990
	v_add_u32_e64 v26, v28, s56                                // 00000000284C: D134001A 0000711C
	v_add_u32_e32 v26, s45, v26                                // 000000002854: 6834342D
	v_lshlrev_b32_e32 v26, 2, v26                              // 000000002858: 24343482
	buffer_load_dword v22, v26, s[24:27], 0 offen              // 00000000285C: E0501000 8006161A
	v_add_u32_e32 v26, s73, v26                                // 000000002864: 68343449
	buffer_load_dword v23, v26, s[24:27], 0 offen              // 000000002868: E0501000 8006171A
	v_add_u32_e32 v26, s73, v26                                // 000000002870: 68343449
	s_mul_i32 s56, s3, s66                                     // 000000002874: 92384203
	s_add_u32 s16, s56, s16                                    // 000000002878: 80101038
	s_addc_u32 s17, 0, s17                                     // 00000000287C: 82111180
	s_mul_i32 s56, s7, 0x400                                   // 000000002880: 9238FF07 00000400
	s_add_u32 m0, 0, s56                                       // 000000002888: 807C3880
	v_and_b32_e32 v28, 3, v0                                   // 00000000288C: 26380083
	v_mov_b32_e32 v29, 0                                       // 000000002890: 7E3A0280
	s_mov_b32 s56, 0                                           // 000000002894: BEB80080
	s_mov_b32 s57, -1                                          // 000000002898: BEB900C1
	v_cndmask_b32_e64 v30, v29, v28, s[56:57]                  // 00000000289C: D100001E 00E2391D
	s_nop 2                                                    // 0000000028A4: BF800002
	v_mov_b32_dpp v30, v30 quad_perm:[2,3,0,1] row_mask:0xf bank_mask:0xf// 0000000028A8: 7E3C02FA FF004E1E
	v_cndmask_b32_e64 v31, v28, v30, s[56:57]                  // 0000000028B0: D100001F 00E23D1C
	v_lshlrev_b32_e32 v31, 4, v31                              // 0000000028B8: 243E3E84
	v_mov_b32_e32 v1, v31                                      // 0000000028BC: 7E02031F
	s_and_b32 s56, 1, s7                                       // 0000000028C0: 86380781
	s_mul_i32 s56, s56, 0x240                                  // 0000000028C4: 9238FF38 00000240
	v_add_u32_e64 v1, v1, s56                                  // 0000000028CC: D1340001 00007101
	v_lshrrev_b32_e32 v28, 2, v0                               // 0000000028D4: 20380082
	s_mov_b32 s56, 0x480                                       // 0000000028D8: BEB800FF 00000480
	v_mul_i32_i24_e64 v28, v28, s56                            // 0000000028E0: D106001C 0000711C
	s_mul_i32 s56, s7, 64                                      // 0000000028E8: 9238C007
	v_add_u32_e32 v29, v28, v31                                // 0000000028EC: 683A3F1C
	v_add_u32_e64 v29, v29, s56                                // 0000000028F0: D134001D 0000711D
	s_mul_i32 s56, s2, 0x12000                                 // 0000000028F8: 9238FF02 00012000
	v_add_u32_e64 v29, v29, s56                                // 000000002900: D134001D 0000711D
	buffer_load_dwordx4 v29, s[16:19], 0 offen lds             // 000000002908: E05D1000 8004001D
	s_add_u32 m0, m0, 0x1000                                   // 000000002910: 807CFF7C 00001000
	v_add_u32_e32 v29, 0x100, v29                              // 000000002918: 683A3AFF 00000100
	buffer_load_dwordx4 v29, s[16:19], 0 offen lds             // 000000002920: E05D1000 8004001D
	s_add_u32 m0, m0, 0x1000                                   // 000000002928: 807CFF7C 00001000
	v_add_u32_e32 v29, 0x100, v29                              // 000000002930: 683A3AFF 00000100
	;; [unrolled: 3-line block ×5, first 2 shown]
	v_add_u32_e32 v29, 0x4300, v29                             // 000000002980: 683A3AFF 00004300
	buffer_load_dwordx4 v29, s[16:19], 0 offen lds             // 000000002988: E05D1000 8004001D
	s_add_u32 m0, m0, 0x1000                                   // 000000002990: 807CFF7C 00001000
	v_add_u32_e32 v29, 0x100, v29                              // 000000002998: 683A3AFF 00000100
	buffer_load_dwordx4 v29, s[16:19], 0 offen lds             // 0000000029A0: E05D1000 8004001D
	s_add_u32 m0, m0, 0x1000                                   // 0000000029A8: 807CFF7C 00001000
	v_add_u32_e32 v29, 0x100, v29                              // 0000000029B0: 683A3AFF 00000100
	buffer_load_dwordx4 v29, s[16:19], 0 offen lds             // 0000000029B8: E05D1000 8004001D
	s_add_u32 m0, m0, 0x1000                                   // 0000000029C0: 807CFF7C 00001000
	v_add_u32_e32 v29, 0x100, v29                              // 0000000029C8: 683A3AFF 00000100
	buffer_load_dwordx4 v29, s[16:19], 0 offen lds             // 0000000029D0: E05D1000 8004001D
	s_add_u32 m0, m0, 0x1000                                   // 0000000029D8: 807CFF7C 00001000
	v_add_u32_e32 v29, 0x100, v29                              // 0000000029E0: 683A3AFF 00000100
	buffer_load_dwordx4 v29, s[16:19], 0 offen lds             // 0000000029E8: E05D1000 8004001D
	s_add_u32 m0, m0, 0x1000                                   // 0000000029F0: 807CFF7C 00001000
	v_add_u32_e32 v29, 0x100, v29                              // 0000000029F8: 683A3AFF 00000100
	v_add_u32_e32 v29, 0x4300, v29                             // 000000002A00: 683A3AFF 00004300
	buffer_load_dwordx4 v29, s[16:19], 0 offen lds             // 000000002A08: E05D1000 8004001D
	s_add_u32 m0, m0, 0x1000                                   // 000000002A10: 807CFF7C 00001000
	v_add_u32_e32 v29, 0x100, v29                              // 000000002A18: 683A3AFF 00000100
	buffer_load_dwordx4 v29, s[16:19], 0 offen lds             // 000000002A20: E05D1000 8004001D
	s_add_u32 m0, m0, 0x1000                                   // 000000002A28: 807CFF7C 00001000
	v_add_u32_e32 v29, 0x100, v29                              // 000000002A30: 683A3AFF 00000100
	buffer_load_dwordx4 v29, s[16:19], 0 offen lds             // 000000002A38: E05D1000 8004001D
	s_add_u32 m0, m0, 0x1000                                   // 000000002A40: 807CFF7C 00001000
	v_add_u32_e32 v29, 0x100, v29                              // 000000002A48: 683A3AFF 00000100
	buffer_load_dwordx4 v29, s[16:19], 0 offen lds             // 000000002A50: E05D1000 8004001D
	s_add_u32 m0, m0, 0x1000                                   // 000000002A58: 807CFF7C 00001000
	v_add_u32_e32 v29, 0x100, v29                              // 000000002A60: 683A3AFF 00000100
	buffer_load_dwordx4 v29, s[16:19], 0 offen lds             // 000000002A68: E05D1000 8004001D
	s_add_u32 m0, m0, 0x1000                                   // 000000002A70: 807CFF7C 00001000
	v_add_u32_e32 v29, 0x100, v29                              // 000000002A78: 683A3AFF 00000100
	v_add_u32_e32 v29, 0x4300, v29                             // 000000002A80: 683A3AFF 00004300
	buffer_load_dwordx4 v29, s[16:19], 0 offen lds             // 000000002A88: E05D1000 8004001D
	s_add_u32 m0, m0, 0x1000                                   // 000000002A90: 807CFF7C 00001000
	v_add_u32_e32 v29, 0x100, v29                              // 000000002A98: 683A3AFF 00000100
	buffer_load_dwordx4 v29, s[16:19], 0 offen lds             // 000000002AA0: E05D1000 8004001D
	s_add_u32 m0, m0, 0x1000                                   // 000000002AA8: 807CFF7C 00001000
	v_add_u32_e32 v29, 0x100, v29                              // 000000002AB0: 683A3AFF 00000100
	buffer_load_dwordx4 v29, s[16:19], 0 offen lds             // 000000002AB8: E05D1000 8004001D
	s_add_u32 m0, m0, 0x1000                                   // 000000002AC0: 807CFF7C 00001000
	v_add_u32_e32 v29, 0x100, v29                              // 000000002AC8: 683A3AFF 00000100
	buffer_load_dwordx4 v29, s[16:19], 0 offen lds             // 000000002AD0: E05D1000 8004001D
	s_add_u32 m0, m0, 0x1000                                   // 000000002AD8: 807CFF7C 00001000
	v_add_u32_e32 v29, 0x100, v29                              // 000000002AE0: 683A3AFF 00000100
	buffer_load_dwordx4 v29, s[16:19], 0 offen lds             // 000000002AE8: E05D1000 8004001D
	s_add_u32 m0, m0, 0x1000                                   // 000000002AF0: 807CFF7C 00001000
	v_add_u32_e32 v29, 0x100, v29                              // 000000002AF8: 683A3AFF 00000100
	v_add_u32_e32 v29, 0x4300, v29                             // 000000002B00: 683A3AFF 00004300
	s_mov_b32 s52, 0x7060302                                   // 000000002B08: BEB400FF 07060302
	s_mov_b32 s53, 0x5040100                                   // 000000002B10: BEB500FF 05040100
	s_mul_i32 s51, s7, 4                                       // 000000002B18: 92338407
	s_mov_b32 s6, 0x3fb8aa3b                                   // 000000002B1C: BE8600FF 3FB8AA3B
	v_mov_b32_e32 v29, s6                                      // 000000002B24: 7E3A0206
	v_mov_b32_e32 v28, s64                                     // 000000002B28: 7E380240
	v_mul_f32_e32 v28, s6, v28                                 // 000000002B2C: 0A383806
	v_rcp_f32_e32 v29, v29                                     // 000000002B30: 7E3A451D
	v_mov_b32_e32 v2, 0xff800000                               // 000000002B34: 7E0402FF FF800000
	v_mov_b32_e32 v16, 0                                       // 000000002B3C: 7E200280
	v_mov_b32_e32 v4, 0                                        // 000000002B40: 7E080280
	v_readfirstlane_b32 s5, v28                                // 000000002B44: 7E0A051C
	v_readfirstlane_b32 s63, v29                               // 000000002B48: 7E7E051D
	s_waitcnt vmcnt(20)                                        // 000000002B4C: BF8C4F74
	v_mul_u32_u24_e64 v32, v22, s68                            // 000000002B50: D1080020 00008916
	v_add_u32_e32 v32, v32, v1                                 // 000000002B58: 68400320
	s_mov_b32 s56, 0x14000                                     // 000000002B5C: BEB800FF 00014000
	s_mul_i32 s57, s7, 0x2400                                  // 000000002B64: 9239FF07 00002400
	s_add_u32 m0, s56, s57                                     // 000000002B6C: 807C3938
	buffer_load_dwordx4 v32, s[20:23], 0 offen lds             // 000000002B70: E05D1000 80050020
	s_add_i32 m0, m0, 0x3c0                                    // 000000002B78: 817CFF7C 000003C0
	buffer_load_dwordx4 v32, s[20:23], 0 offen offset:64 lds   // 000000002B80: E05D1040 80050020
	s_add_i32 m0, m0, 0x3c0                                    // 000000002B88: 817CFF7C 000003C0
	buffer_load_dwordx4 v32, s[20:23], 0 offen offset:128 lds  // 000000002B90: E05D1080 80050020
	s_add_i32 m0, m0, 0x3c0                                    // 000000002B98: 817CFF7C 000003C0
	buffer_load_dwordx4 v32, s[20:23], 0 offen offset:192 lds  // 000000002BA0: E05D10C0 80050020
	s_add_i32 m0, m0, 0x3c0                                    // 000000002BA8: 817CFF7C 000003C0
	buffer_load_dwordx4 v32, s[20:23], 0 offen offset:256 lds  // 000000002BB0: E05D1100 80050020
	s_add_i32 m0, m0, 0x3c0                                    // 000000002BB8: 817CFF7C 000003C0
	buffer_load_dwordx4 v32, s[20:23], 0 offen offset:320 lds  // 000000002BC0: E05D1140 80050020
	s_add_i32 m0, m0, 0x3c0                                    // 000000002BC8: 817CFF7C 000003C0
	buffer_load_dwordx4 v32, s[20:23], 0 offen offset:384 lds  // 000000002BD0: E05D1180 80050020
	s_add_i32 m0, m0, 0x3c0                                    // 000000002BD8: 817CFF7C 000003C0
	buffer_load_dwordx4 v32, s[20:23], 0 offen offset:448 lds  // 000000002BE0: E05D11C0 80050020
	s_add_i32 m0, m0, 0x3c0                                    // 000000002BE8: 817CFF7C 000003C0
	buffer_load_dwordx4 v32, s[20:23], 0 offen offset:512 lds  // 000000002BF0: E05D1200 80050020
	s_add_i32 m0, m0, 0x3c0                                    // 000000002BF8: 817CFF7C 000003C0
	buffer_load_dword v24, v26, s[24:27], 0 offen              // 000000002C00: E0501000 8006181A
	v_add_u32_e32 v26, s73, v26                                // 000000002C08: 68343449
	v_lshrrev_b32_e32 v28, 4, v0                               // 000000002C0C: 20380084
	v_lshlrev_b32_e32 v28, 2, v28                              // 000000002C10: 24383882
	v_sub_u32_e32 v29, 12, v28                                 // 000000002C14: 6A3A388C
	v_mov_b32_e32 v30, v29                                     // 000000002C18: 7E3C031D
	s_nop 1                                                    // 000000002C1C: BF800001
	v_permlane16_swap_b32_e32 v29, v30                         // 000000002C20: 7E3AB31E
	s_nop 1                                                    // 000000002C24: BF800001
	v_permlane16_swap_b32_e32 v30, v29                         // 000000002C28: 7E3CB31D
	s_mov_b32 s56, 0xff00ff00                                  // 000000002C2C: BEB800FF FF00FF00
	s_mov_b32 s57, 0xff00ff00                                  // 000000002C34: BEB900FF FF00FF00
	v_cndmask_b32_e64 v30, v28, v29, s[56:57]                  // 000000002C3C: D100001E 00E23B1C
	v_and_b32_e32 v28, 15, v0                                  // 000000002C44: 2638008F
	v_lshlrev_b32_e32 v28, 4, v28                              // 000000002C48: 24383884
	v_add_u32_e32 v6, v28, v30                                 // 000000002C4C: 680C3D1C
	v_lshlrev_b32_e32 v6, 2, v6                                // 000000002C50: 240C0C82
	s_mul_i32 s56, s7, 0x5000                                  // 000000002C54: 9238FF07 00005000
	v_add_u32_e32 v6, s56, v6                                  // 000000002C5C: 680C0C38
	s_waitcnt vmcnt(10)                                        // 000000002C60: BF8C0F7A
	s_barrier                                                  // 000000002C64: BF8A0000
	ds_read_b128 a[0:3], v6                                    // 000000002C68: DBFE0000 00000006
	ds_read_b128 a[4:7], v6 offset:1024                        // 000000002C70: DBFE0400 04000006
	ds_read_b128 a[8:11], v6 offset:2048                       // 000000002C78: DBFE0800 08000006
	ds_read_b128 a[12:15], v6 offset:3072                      // 000000002C80: DBFE0C00 0C000006
	ds_read_b128 a[16:19], v6 offset:4096                      // 000000002C88: DBFE1000 10000006
	ds_read_b128 a[20:23], v6 offset:5120                      // 000000002C90: DBFE1400 14000006
	ds_read_b128 a[24:27], v6 offset:6144                      // 000000002C98: DBFE1800 18000006
	ds_read_b128 a[28:31], v6 offset:7168                      // 000000002CA0: DBFE1C00 1C000006
	ds_read_b128 a[32:35], v6 offset:8192                      // 000000002CA8: DBFE2000 20000006
	ds_read_b128 a[36:39], v6 offset:9216                      // 000000002CB0: DBFE2400 24000006
	ds_read_b128 a[40:43], v6 offset:10240                     // 000000002CB8: DBFE2800 28000006
	ds_read_b128 a[44:47], v6 offset:11264                     // 000000002CC0: DBFE2C00 2C000006
	ds_read_b128 a[48:51], v6 offset:12288                     // 000000002CC8: DBFE3000 30000006
	ds_read_b128 a[52:55], v6 offset:13312                     // 000000002CD0: DBFE3400 34000006
	ds_read_b128 a[56:59], v6 offset:14336                     // 000000002CD8: DBFE3800 38000006
	ds_read_b128 a[60:63], v6 offset:15360                     // 000000002CE0: DBFE3C00 3C000006
	ds_read_b128 a[64:67], v6 offset:16384                     // 000000002CE8: DBFE4000 40000006
	ds_read_b128 a[68:71], v6 offset:17408                     // 000000002CF0: DBFE4400 44000006
	v_mov_b32_e32 v50, 0                                       // 000000002CF8: 7E640280
	v_mov_b32_e32 v51, 0                                       // 000000002CFC: 7E660280
	v_mov_b32_e32 v52, 0                                       // 000000002D00: 7E680280
	v_mov_b32_e32 v53, 0                                       // 000000002D04: 7E6A0280
	v_mov_b32_e32 v54, 0                                       // 000000002D08: 7E6C0280
	v_mov_b32_e32 v55, 0                                       // 000000002D0C: 7E6E0280
	v_mov_b32_e32 v56, 0                                       // 000000002D10: 7E700280
	v_mov_b32_e32 v57, 0                                       // 000000002D14: 7E720280
	v_mov_b32_e32 v58, 0                                       // 000000002D18: 7E740280
	v_mov_b32_e32 v59, 0                                       // 000000002D1C: 7E760280
	v_mov_b32_e32 v60, 0                                       // 000000002D20: 7E780280
	v_mov_b32_e32 v61, 0                                       // 000000002D24: 7E7A0280
	v_mov_b32_e32 v62, 0                                       // 000000002D28: 7E7C0280
	v_mov_b32_e32 v63, 0                                       // 000000002D2C: 7E7E0280
	v_mov_b32_e32 v64, 0                                       // 000000002D30: 7E800280
	v_mov_b32_e32 v65, 0                                       // 000000002D34: 7E820280
	v_mov_b32_e32 v66, 0                                       // 000000002D38: 7E840280
	v_mov_b32_e32 v67, 0                                       // 000000002D3C: 7E860280
	v_mov_b32_e32 v68, 0                                       // 000000002D40: 7E880280
	v_mov_b32_e32 v69, 0                                       // 000000002D44: 7E8A0280
	v_mov_b32_e32 v70, 0                                       // 000000002D48: 7E8C0280
	v_mov_b32_e32 v71, 0                                       // 000000002D4C: 7E8E0280
	v_mov_b32_e32 v72, 0                                       // 000000002D50: 7E900280
	v_mov_b32_e32 v73, 0                                       // 000000002D54: 7E920280
	v_mov_b32_e32 v74, 0                                       // 000000002D58: 7E940280
	v_mov_b32_e32 v75, 0                                       // 000000002D5C: 7E960280
	v_mov_b32_e32 v76, 0                                       // 000000002D60: 7E980280
	v_mov_b32_e32 v77, 0                                       // 000000002D64: 7E9A0280
	v_mov_b32_e32 v78, 0                                       // 000000002D68: 7E9C0280
	v_mov_b32_e32 v79, 0                                       // 000000002D6C: 7E9E0280
	v_mov_b32_e32 v80, 0                                       // 000000002D70: 7EA00280
	v_mov_b32_e32 v81, 0                                       // 000000002D74: 7EA20280
	v_mov_b32_e32 v82, 0                                       // 000000002D78: 7EA40280
	v_mov_b32_e32 v83, 0                                       // 000000002D7C: 7EA60280
	v_mov_b32_e32 v84, 0                                       // 000000002D80: 7EA80280
	v_mov_b32_e32 v85, 0                                       // 000000002D84: 7EAA0280
	v_mov_b32_e32 v86, 0                                       // 000000002D88: 7EAC0280
	v_mov_b32_e32 v87, 0                                       // 000000002D8C: 7EAE0280
	v_mov_b32_e32 v88, 0                                       // 000000002D90: 7EB00280
	v_mov_b32_e32 v89, 0                                       // 000000002D94: 7EB20280
	v_mov_b32_e32 v90, 0                                       // 000000002D98: 7EB40280
	v_mov_b32_e32 v91, 0                                       // 000000002D9C: 7EB60280
	v_mov_b32_e32 v92, 0                                       // 000000002DA0: 7EB80280
	v_mov_b32_e32 v93, 0                                       // 000000002DA4: 7EBA0280
	v_mov_b32_e32 v94, 0                                       // 000000002DA8: 7EBC0280
	v_mov_b32_e32 v95, 0                                       // 000000002DAC: 7EBE0280
	v_mov_b32_e32 v96, 0                                       // 000000002DB0: 7EC00280
	v_mov_b32_e32 v97, 0                                       // 000000002DB4: 7EC20280
	v_mov_b32_e32 v98, 0                                       // 000000002DB8: 7EC40280
	v_mov_b32_e32 v99, 0                                       // 000000002DBC: 7EC60280
	v_mov_b32_e32 v100, 0                                      // 000000002DC0: 7EC80280
	v_mov_b32_e32 v101, 0                                      // 000000002DC4: 7ECA0280
	v_mov_b32_e32 v102, 0                                      // 000000002DC8: 7ECC0280
	v_mov_b32_e32 v103, 0                                      // 000000002DCC: 7ECE0280
	v_mov_b32_e32 v104, 0                                      // 000000002DD0: 7ED00280
	v_mov_b32_e32 v105, 0                                      // 000000002DD4: 7ED20280
	v_mov_b32_e32 v106, 0                                      // 000000002DD8: 7ED40280
	v_mov_b32_e32 v107, 0                                      // 000000002DDC: 7ED60280
	v_mov_b32_e32 v108, 0                                      // 000000002DE0: 7ED80280
	v_mov_b32_e32 v109, 0                                      // 000000002DE4: 7EDA0280
	v_mov_b32_e32 v110, 0                                      // 000000002DE8: 7EDC0280
	v_mov_b32_e32 v111, 0                                      // 000000002DEC: 7EDE0280
	v_mov_b32_e32 v112, 0                                      // 000000002DF0: 7EE00280
	v_mov_b32_e32 v113, 0                                      // 000000002DF4: 7EE20280
	v_mov_b32_e32 v114, 0                                      // 000000002DF8: 7EE40280
	v_mov_b32_e32 v115, 0                                      // 000000002DFC: 7EE60280
	v_mov_b32_e32 v116, 0                                      // 000000002E00: 7EE80280
	v_mov_b32_e32 v117, 0                                      // 000000002E04: 7EEA0280
	v_mov_b32_e32 v118, 0                                      // 000000002E08: 7EEC0280
	v_mov_b32_e32 v119, 0                                      // 000000002E0C: 7EEE0280
	v_mov_b32_e32 v120, 0                                      // 000000002E10: 7EF00280
	v_mov_b32_e32 v121, 0                                      // 000000002E14: 7EF20280
	v_mov_b32_e32 v122, 0                                      // 000000002E18: 7EF40280
	v_mov_b32_e32 v123, 0                                      // 000000002E1C: 7EF60280
	v_mov_b32_e32 v124, 0                                      // 000000002E20: 7EF80280
	v_mov_b32_e32 v125, 0                                      // 000000002E24: 7EFA0280
	v_mov_b32_e32 v126, 0                                      // 000000002E28: 7EFC0280
	v_mov_b32_e32 v127, 0                                      // 000000002E2C: 7EFE0280
	v_mov_b32_e32 v128, 0                                      // 000000002E30: 7F000280
	v_mov_b32_e32 v129, 0                                      // 000000002E34: 7F020280
	v_mov_b32_e32 v130, 0                                      // 000000002E38: 7F040280
	v_mov_b32_e32 v131, 0                                      // 000000002E3C: 7F060280
	v_mov_b32_e32 v132, 0                                      // 000000002E40: 7F080280
	v_mov_b32_e32 v133, 0                                      // 000000002E44: 7F0A0280
	v_mov_b32_e32 v134, 0                                      // 000000002E48: 7F0C0280
	v_mov_b32_e32 v135, 0                                      // 000000002E4C: 7F0E0280
	v_mov_b32_e32 v136, 0                                      // 000000002E50: 7F100280
	v_mov_b32_e32 v137, 0                                      // 000000002E54: 7F120280
	v_mov_b32_e32 v138, 0                                      // 000000002E58: 7F140280
	v_mov_b32_e32 v139, 0                                      // 000000002E5C: 7F160280
	v_mov_b32_e32 v140, 0                                      // 000000002E60: 7F180280
	v_mov_b32_e32 v141, 0                                      // 000000002E64: 7F1A0280
	v_mov_b32_e32 v142, 0                                      // 000000002E68: 7F1C0280
	v_mov_b32_e32 v143, 0                                      // 000000002E6C: 7F1E0280
	v_mov_b32_e32 v144, 0                                      // 000000002E70: 7F200280
	v_mov_b32_e32 v145, 0                                      // 000000002E74: 7F220280
	v_mov_b32_e32 v146, 0                                      // 000000002E78: 7F240280
	v_mov_b32_e32 v147, 0                                      // 000000002E7C: 7F260280
	v_mov_b32_e32 v148, 0                                      // 000000002E80: 7F280280
	v_mov_b32_e32 v149, 0                                      // 000000002E84: 7F2A0280
	v_mov_b32_e32 v150, 0                                      // 000000002E88: 7F2C0280
	v_mov_b32_e32 v151, 0                                      // 000000002E8C: 7F2E0280
	v_mov_b32_e32 v152, 0                                      // 000000002E90: 7F300280
	v_mov_b32_e32 v153, 0                                      // 000000002E94: 7F320280
	v_mov_b32_e32 v154, 0                                      // 000000002E98: 7F340280
	v_mov_b32_e32 v155, 0                                      // 000000002E9C: 7F360280
	v_mov_b32_e32 v156, 0                                      // 000000002EA0: 7F380280
	v_mov_b32_e32 v157, 0                                      // 000000002EA4: 7F3A0280
	v_mov_b32_e32 v158, 0                                      // 000000002EA8: 7F3C0280
	v_mov_b32_e32 v159, 0                                      // 000000002EAC: 7F3E0280
	v_mov_b32_e32 v160, 0                                      // 000000002EB0: 7F400280
	v_mov_b32_e32 v161, 0                                      // 000000002EB4: 7F420280
	v_mov_b32_e32 v162, 0                                      // 000000002EB8: 7F440280
	v_mov_b32_e32 v163, 0                                      // 000000002EBC: 7F460280
	v_mov_b32_e32 v164, 0                                      // 000000002EC0: 7F480280
	v_mov_b32_e32 v165, 0                                      // 000000002EC4: 7F4A0280
	v_mov_b32_e32 v166, 0                                      // 000000002EC8: 7F4C0280
	v_mov_b32_e32 v167, 0                                      // 000000002ECC: 7F4E0280
	v_mov_b32_e32 v168, 0                                      // 000000002ED0: 7F500280
	v_mov_b32_e32 v169, 0                                      // 000000002ED4: 7F520280
	v_mov_b32_e32 v170, 0                                      // 000000002ED8: 7F540280
	v_mov_b32_e32 v171, 0                                      // 000000002EDC: 7F560280
	v_mov_b32_e32 v172, 0                                      // 000000002EE0: 7F580280
	v_mov_b32_e32 v173, 0                                      // 000000002EE4: 7F5A0280
	v_mov_b32_e32 v174, 0                                      // 000000002EE8: 7F5C0280
	v_mov_b32_e32 v175, 0                                      // 000000002EEC: 7F5E0280
	v_mov_b32_e32 v176, 0                                      // 000000002EF0: 7F600280
	v_mov_b32_e32 v177, 0                                      // 000000002EF4: 7F620280
	v_lshrrev_b32_e32 v28, 4, v0                               // 000000002EF8: 20380084
	v_lshlrev_b32_e32 v28, 2, v28                              // 000000002EFC: 24383882
	v_sub_u32_e32 v29, 12, v28                                 // 000000002F00: 6A3A388C
	v_mov_b32_e32 v30, v29                                     // 000000002F04: 7E3C031D
	s_nop 1                                                    // 000000002F08: BF800001
	v_permlane16_swap_b32_e32 v29, v30                         // 000000002F0C: 7E3AB31E
	s_nop 1                                                    // 000000002F10: BF800001
	v_permlane16_swap_b32_e32 v30, v29                         // 000000002F14: 7E3CB31D
	s_mov_b32 s56, 0xff00ff00                                  // 000000002F18: BEB800FF FF00FF00
	s_mov_b32 s57, 0xff00ff00                                  // 000000002F20: BEB900FF FF00FF00
	v_cndmask_b32_e64 v30, v28, v29, s[56:57]                  // 000000002F28: D100001E 00E23B1C
	v_and_b32_e32 v28, 15, v0                                  // 000000002F30: 2638008F
	v_lshlrev_b32_e32 v28, 4, v28                              // 000000002F34: 24383884
	v_add_u32_e32 v18, v28, v30                                // 000000002F38: 68243D1C
	v_lshlrev_b32_e32 v19, 2, v18                              // 000000002F3C: 24262482
	s_mov_b32 s56, 0x2000                                      // 000000002F40: BEB800FF 00002000
	v_add_u32_e32 v18, s56, v19                                // 000000002F48: 68242638
	s_mov_b32 s57, 0x9000                                      // 000000002F4C: BEB900FF 00009000
	v_add_u32_e32 v19, s57, v18                                // 000000002F54: 68262439
	v_add_u32_e32 v20, s57, v19                                // 000000002F58: 68282639
	v_add_u32_e32 v21, s57, v20                                // 000000002F5C: 682A2839
	v_and_b32_e32 v28, 15, v0                                  // 000000002F60: 2638008F
	v_lshrrev_b32_e32 v29, 2, v28                              // 000000002F64: 203A3882
	v_and_b32_e32 v30, 16, v0                                  // 000000002F68: 263C0090
	v_lshrrev_b32_e32 v30, 1, v30                              // 000000002F6C: 203C3C81
	v_add_u32_e32 v31, v30, v29                                // 000000002F70: 683E3B1E
	v_lshlrev_b32_e32 v31, 4, v31                              // 000000002F74: 243E3E84
	v_and_b32_e32 v29, 3, v0                                   // 000000002F78: 263A0083
	v_lshlrev_b32_e32 v30, 1, v29                              // 000000002F7C: 243C3A81
	v_add_u32_e32 v31, v31, v30                                // 000000002F80: 683E3D1F
	v_mov_b32_e32 v28, 0                                       // 000000002F84: 7E380280
	v_mov_b32_e32 v29, 8                                       // 000000002F88: 7E3A0288
	s_mov_b32 s57, 0xffff0000                                  // 000000002F8C: BEB900FF FFFF0000
	s_mov_b32 s56, 0xffff0000                                  // 000000002F94: BEB800FF FFFF0000
	v_cndmask_b32_e64 v50, v28, v29, s[56:57]                  // 000000002F9C: D1000032 00E23B1C
	v_cndmask_b32_e64 v51, v29, v28, s[56:57]                  // 000000002FA4: D1000033 00E2391D
	v_add_u32_e32 v8, v31, v50                                 // 000000002FAC: 6810651F
	v_add_u32_e32 v9, v31, v51                                 // 000000002FB0: 6812671F
	v_lshrrev_b32_e32 v28, 5, v0                               // 000000002FB4: 20380085
	s_mov_b32 s57, 0x1200                                      // 000000002FB8: BEB900FF 00001200
	v_mul_i32_i24_e32 v28, s57, v28                            // 000000002FC0: 0C383839
	v_add_u32_e32 v8, v8, v28                                  // 000000002FC4: 68103908
	v_add_u32_e32 v9, v9, v28                                  // 000000002FC8: 68123909
	v_lshlrev_b32_e32 v8, 2, v8                                // 000000002FCC: 24101082
	v_lshlrev_b32_e32 v9, 2, v9                                // 000000002FD0: 24121282
	s_mov_b32 s56, 0x2000                                      // 000000002FD4: BEB800FF 00002000
	v_add_u32_e32 v8, s56, v8                                  // 000000002FDC: 68101038
	v_add_u32_e32 v9, s56, v9                                  // 000000002FE0: 68121238
	s_mov_b32 s56, 0x9000                                      // 000000002FE4: BEB800FF 00009000
	v_add_u32_e32 v10, s56, v8                                 // 000000002FEC: 68141038
	v_add_u32_e32 v11, s56, v9                                 // 000000002FF0: 68161238
	v_add_u32_e32 v12, s56, v10                                // 000000002FF4: 68181438
	v_add_u32_e32 v13, s56, v11                                // 000000002FF8: 681A1638
	v_add_u32_e32 v14, s56, v12                                // 000000002FFC: 681C1838
	v_add_u32_e32 v15, s56, v13                                // 000000003000: 681E1A38
	v_mul_u32_u24_e64 v32, v23, s68                            // 000000003004: D1080020 00008917
	v_add_u32_e32 v32, v32, v1                                 // 00000000300C: 68400320
	s_mov_b32 s56, 0x1d000                                     // 000000003010: BEB800FF 0001D000
	s_mul_i32 s57, s7, 0x2400                                  // 000000003018: 9239FF07 00002400
	s_add_u32 m0, s56, s57                                     // 000000003020: 807C3938
	buffer_load_dwordx4 v32, s[20:23], 0 offen lds             // 000000003024: E05D1000 80050020
	s_add_i32 m0, m0, 0x3c0                                    // 00000000302C: 817CFF7C 000003C0
	buffer_load_dwordx4 v32, s[20:23], 0 offen offset:64 lds   // 000000003034: E05D1040 80050020
	s_add_i32 m0, m0, 0x3c0                                    // 00000000303C: 817CFF7C 000003C0
	buffer_load_dwordx4 v32, s[20:23], 0 offen offset:128 lds  // 000000003044: E05D1080 80050020
	s_add_i32 m0, m0, 0x3c0                                    // 00000000304C: 817CFF7C 000003C0
	buffer_load_dwordx4 v32, s[20:23], 0 offen offset:192 lds  // 000000003054: E05D10C0 80050020
	s_add_i32 m0, m0, 0x3c0                                    // 00000000305C: 817CFF7C 000003C0
	buffer_load_dwordx4 v32, s[20:23], 0 offen offset:256 lds  // 000000003064: E05D1100 80050020
	s_add_i32 m0, m0, 0x3c0                                    // 00000000306C: 817CFF7C 000003C0
	buffer_load_dwordx4 v32, s[20:23], 0 offen offset:320 lds  // 000000003074: E05D1140 80050020
	s_add_i32 m0, m0, 0x3c0                                    // 00000000307C: 817CFF7C 000003C0
	buffer_load_dwordx4 v32, s[20:23], 0 offen offset:384 lds  // 000000003084: E05D1180 80050020
	s_add_i32 m0, m0, 0x3c0                                    // 00000000308C: 817CFF7C 000003C0
	buffer_load_dwordx4 v32, s[20:23], 0 offen offset:448 lds  // 000000003094: E05D11C0 80050020
	s_add_i32 m0, m0, 0x3c0                                    // 00000000309C: 817CFF7C 000003C0
	buffer_load_dwordx4 v32, s[20:23], 0 offen offset:512 lds  // 0000000030A4: E05D1200 80050020
	s_add_i32 m0, m0, 0x3c0                                    // 0000000030AC: 817CFF7C 000003C0
	buffer_load_dword v25, v26, s[24:27], 0 offen              // 0000000030B4: E0501000 8006191A
	v_add_u32_e32 v26, s73, v26                                // 0000000030BC: 68343449
	s_waitcnt vmcnt(10)                                        // 0000000030C0: BF8C0F7A
	s_barrier                                                  // 0000000030C4: BF8A0000
	s_waitcnt lgkmcnt(0)                                       // 0000000030C8: BF8CC07F
	ds_read_b128 a[72:75], v20                                 // 0000000030CC: DBFE0000 48000014
	ds_read_b128 a[76:79], v20 offset:1024                     // 0000000030D4: DBFE0400 4C000014
	ds_read_b128 a[80:83], v20 offset:2048                     // 0000000030DC: DBFE0800 50000014
	ds_read_b128 a[84:87], v20 offset:3072                     // 0000000030E4: DBFE0C00 54000014
	ds_read_b128 a[88:91], v20 offset:4096                     // 0000000030EC: DBFE1000 58000014
	ds_read_b128 a[92:95], v20 offset:5120                     // 0000000030F4: DBFE1400 5C000014
	ds_read_b128 a[96:99], v20 offset:6144                     // 0000000030FC: DBFE1800 60000014
	ds_read_b128 a[100:103], v20 offset:7168                   // 000000003104: DBFE1C00 64000014
	ds_read_b128 a[104:107], v20 offset:8192                   // 00000000310C: DBFE2000 68000014
	ds_read_b128 a[108:111], v20 offset:9216                   // 000000003114: DBFE2400 6C000014
	ds_read_b128 a[112:115], v20 offset:10240                  // 00000000311C: DBFE2800 70000014
	ds_read_b128 a[116:119], v20 offset:11264                  // 000000003124: DBFE2C00 74000014
	ds_read_b128 a[120:123], v20 offset:12288                  // 00000000312C: DBFE3000 78000014
	ds_read_b128 a[124:127], v20 offset:13312                  // 000000003134: DBFE3400 7C000014
	ds_read_b128 a[128:131], v20 offset:14336                  // 00000000313C: DBFE3800 80000014
	ds_read_b128 a[132:135], v20 offset:15360                  // 000000003144: DBFE3C00 84000014
	ds_read_b128 a[136:139], v20 offset:16384                  // 00000000314C: DBFE4000 88000014
	ds_read_b128 a[140:143], v20 offset:17408                  // 000000003154: DBFE4400 8C000014
	s_cmp_lt_u32 s71, 1                                        // 00000000315C: BF0A8147
	s_cbranch_scc1 label_8C5C                                  // 000000003160: BF851FFE
	s_waitcnt lgkmcnt(4)                                       // 000000003164: BF8CC47F
	v_mfma_f32_16x16x32_bf16 v[34:37], a[72:75], a[0:3], 0     // 000000003168: D3B50022 1A020148
	v_mul_u32_u24_e64 v32, v24, s68                            // 000000003170: D1080020 00008918
	v_add_u32_e32 v32, v32, v1                                 // 000000003178: 68400320
	buffer_load_dword v22, v26, s[24:27], 0 offen              // 00000000317C: E0501000 8006161A
	v_mfma_f32_16x16x32_bf16 v[34:37], a[76:79], a[4:7], v[34:37]// 000000003184: D3B50022 1C8A094C
	s_mov_b32 s56, 0x2000                                      // 00000000318C: BEB800FF 00002000
	s_mul_i32 s57, s7, 0x2400                                  // 000000003194: 9239FF07 00002400
	s_add_u32 m0, s56, s57                                     // 00000000319C: 807C3938
	buffer_load_dwordx4 v32, s[20:23], 0 offen lds             // 0000000031A0: E05D1000 80050020
	s_add_i32 m0, m0, 0x3c0                                    // 0000000031A8: 817CFF7C 000003C0
	v_mfma_f32_16x16x32_bf16 v[34:37], a[80:83], a[8:11], v[34:37]// 0000000031B0: D3B50022 1C8A1150
	buffer_load_dwordx4 v32, s[20:23], 0 offen offset:64 lds   // 0000000031B8: E05D1040 80050020
	s_add_i32 m0, m0, 0x3c0                                    // 0000000031C0: 817CFF7C 000003C0
	v_mfma_f32_16x16x32_bf16 v[34:37], a[84:87], a[12:15], v[34:37]// 0000000031C8: D3B50022 1C8A1954
	buffer_load_dwordx4 v32, s[20:23], 0 offen offset:128 lds  // 0000000031D0: E05D1080 80050020
	s_add_i32 m0, m0, 0x3c0                                    // 0000000031D8: 817CFF7C 000003C0
	v_mfma_f32_16x16x32_bf16 v[34:37], a[88:91], a[16:19], v[34:37]// 0000000031E0: D3B50022 1C8A2158
	buffer_load_dwordx4 v32, s[20:23], 0 offen offset:192 lds  // 0000000031E8: E05D10C0 80050020
	s_add_i32 m0, m0, 0x3c0                                    // 0000000031F0: 817CFF7C 000003C0
	v_mfma_f32_16x16x32_bf16 v[34:37], a[92:95], a[20:23], v[34:37]// 0000000031F8: D3B50022 1C8A295C
	buffer_load_dwordx4 v32, s[20:23], 0 offen offset:256 lds  // 000000003200: E05D1100 80050020
	s_add_i32 m0, m0, 0x3c0                                    // 000000003208: 817CFF7C 000003C0
	v_mfma_f32_16x16x32_bf16 v[34:37], a[96:99], a[24:27], v[34:37]// 000000003210: D3B50022 1C8A3160
	buffer_load_dwordx4 v32, s[20:23], 0 offen offset:320 lds  // 000000003218: E05D1140 80050020
	s_add_i32 m0, m0, 0x3c0                                    // 000000003220: 817CFF7C 000003C0
	v_mfma_f32_16x16x32_bf16 v[34:37], a[100:103], a[28:31], v[34:37]// 000000003228: D3B50022 1C8A3964
	buffer_load_dwordx4 v32, s[20:23], 0 offen offset:384 lds  // 000000003230: E05D1180 80050020
	s_add_i32 m0, m0, 0x3c0                                    // 000000003238: 817CFF7C 000003C0
	v_mfma_f32_16x16x32_bf16 v[34:37], a[104:107], a[32:35], v[34:37]// 000000003240: D3B50022 1C8A4168
	buffer_load_dwordx4 v32, s[20:23], 0 offen offset:448 lds  // 000000003248: E05D11C0 80050020
	s_add_i32 m0, m0, 0x3c0                                    // 000000003250: 817CFF7C 000003C0
	v_mfma_f32_16x16x32_bf16 v[34:37], a[108:111], a[36:39], v[34:37]// 000000003258: D3B50022 1C8A496C
	buffer_load_dwordx4 v32, s[20:23], 0 offen offset:512 lds  // 000000003260: E05D1200 80050020
	s_add_i32 m0, m0, 0x3c0                                    // 000000003268: 817CFF7C 000003C0
	v_mfma_f32_16x16x32_bf16 v[34:37], a[112:115], a[40:43], v[34:37]// 000000003270: D3B50022 1C8A5170
	ds_read_b128 a[72:75], v20 offset:18432                    // 000000003278: DBFE4800 48000014
	ds_read_b128 a[76:79], v20 offset:19456                    // 000000003280: DBFE4C00 4C000014
	v_mfma_f32_16x16x32_bf16 v[34:37], a[116:119], a[44:47], v[34:37]// 000000003288: D3B50022 1C8A5974
	ds_read_b128 a[80:83], v20 offset:20480                    // 000000003290: DBFE5000 50000014
	ds_read_b128 a[84:87], v20 offset:21504                    // 000000003298: DBFE5400 54000014
	v_mfma_f32_16x16x32_bf16 v[34:37], a[120:123], a[48:51], v[34:37]// 0000000032A0: D3B50022 1C8A6178
	ds_read_b128 a[88:91], v20 offset:22528                    // 0000000032A8: DBFE5800 58000014
	ds_read_b128 a[92:95], v20 offset:23552                    // 0000000032B0: DBFE5C00 5C000014
	v_mfma_f32_16x16x32_bf16 v[34:37], a[124:127], a[52:55], v[34:37]// 0000000032B8: D3B50022 1C8A697C
	ds_read_b128 a[96:99], v20 offset:24576                    // 0000000032C0: DBFE6000 60000014
	ds_read_b128 a[100:103], v20 offset:25600                  // 0000000032C8: DBFE6400 64000014
	v_mfma_f32_16x16x32_bf16 v[34:37], a[128:131], a[56:59], v[34:37]// 0000000032D0: D3B50022 1C8A7180
	ds_read_b128 a[104:107], v20 offset:26624                  // 0000000032D8: DBFE6800 68000014
	ds_read_b128 a[108:111], v20 offset:27648                  // 0000000032E0: DBFE6C00 6C000014
	v_mfma_f32_16x16x32_bf16 v[34:37], a[132:135], a[60:63], v[34:37]// 0000000032E8: D3B50022 1C8A7984
	ds_read_b128 a[112:115], v20 offset:28672                  // 0000000032F0: DBFE7000 70000014
	ds_read_b128 a[116:119], v20 offset:29696                  // 0000000032F8: DBFE7400 74000014
	v_mfma_f32_16x16x32_bf16 v[34:37], a[136:139], a[64:67], v[34:37]// 000000003300: D3B50022 1C8A8188
	ds_read_b128 a[120:123], v20 offset:30720                  // 000000003308: DBFE7800 78000014
	ds_read_b128 a[124:127], v20 offset:31744                  // 000000003310: DBFE7C00 7C000014
	v_mfma_f32_16x16x32_bf16 v[34:37], a[140:143], a[68:71], v[34:37]// 000000003318: D3B50022 1C8A898C
	ds_read_b128 a[128:131], v20 offset:32768                  // 000000003320: DBFE8000 80000014
	ds_read_b128 a[132:135], v20 offset:33792                  // 000000003328: DBFE8400 84000014
	ds_read_b128 a[136:139], v20 offset:34816                  // 000000003330: DBFE8800 88000014
	ds_read_b128 a[140:143], v20 offset:35840                  // 000000003338: DBFE8C00 8C000014
	v_add_u32_e32 v26, s73, v26                                // 000000003340: 68343449
	s_waitcnt lgkmcnt(4)                                       // 000000003344: BF8CC47F
	v_mfma_f32_16x16x32_bf16 v[38:41], a[72:75], a[0:3], 0     // 000000003348: D3B50026 1A020148
	v_mfma_f32_16x16x32_bf16 v[38:41], a[76:79], a[4:7], v[38:41]// 000000003350: D3B50026 1C9A094C
	v_mfma_f32_16x16x32_bf16 v[38:41], a[80:83], a[8:11], v[38:41]// 000000003358: D3B50026 1C9A1150
	v_mfma_f32_16x16x32_bf16 v[38:41], a[84:87], a[12:15], v[38:41]// 000000003360: D3B50026 1C9A1954
	v_mfma_f32_16x16x32_bf16 v[38:41], a[88:91], a[16:19], v[38:41]// 000000003368: D3B50026 1C9A2158
	v_mfma_f32_16x16x32_bf16 v[38:41], a[92:95], a[20:23], v[38:41]// 000000003370: D3B50026 1C9A295C
	s_waitcnt vmcnt(10)                                        // 000000003378: BF8C0F7A
	s_barrier                                                  // 00000000337C: BF8A0000
	v_mfma_f32_16x16x32_bf16 v[38:41], a[96:99], a[24:27], v[38:41]// 000000003380: D3B50026 1C9A3160
	v_mfma_f32_16x16x32_bf16 v[38:41], a[100:103], a[28:31], v[38:41]// 000000003388: D3B50026 1C9A3964
	ds_read_b128 a[72:75], v21                                 // 000000003390: DBFE0000 48000015
	v_mfma_f32_16x16x32_bf16 v[38:41], a[104:107], a[32:35], v[38:41]// 000000003398: D3B50026 1C9A4168
	v_mfma_f32_16x16x32_bf16 v[38:41], a[108:111], a[36:39], v[38:41]// 0000000033A0: D3B50026 1C9A496C
	ds_read_b128 a[76:79], v21 offset:1024                     // 0000000033A8: DBFE0400 4C000015
	v_mfma_f32_16x16x32_bf16 v[38:41], a[112:115], a[40:43], v[38:41]// 0000000033B0: D3B50026 1C9A5170
	v_mfma_f32_16x16x32_bf16 v[38:41], a[116:119], a[44:47], v[38:41]// 0000000033B8: D3B50026 1C9A5974
	ds_read_b128 a[80:83], v21 offset:2048                     // 0000000033C0: DBFE0800 50000015
	v_mfma_f32_16x16x32_bf16 v[38:41], a[120:123], a[48:51], v[38:41]// 0000000033C8: D3B50026 1C9A6178
	v_mfma_f32_16x16x32_bf16 v[38:41], a[124:127], a[52:55], v[38:41]// 0000000033D0: D3B50026 1C9A697C
	ds_read_b128 a[84:87], v21 offset:3072                     // 0000000033D8: DBFE0C00 54000015
	v_mfma_f32_16x16x32_bf16 v[38:41], a[128:131], a[56:59], v[38:41]// 0000000033E0: D3B50026 1C9A7180
	v_mfma_f32_16x16x32_bf16 v[38:41], a[132:135], a[60:63], v[38:41]// 0000000033E8: D3B50026 1C9A7984
	ds_read_b128 a[88:91], v21 offset:4096                     // 0000000033F0: DBFE1000 58000015
	v_mfma_f32_16x16x32_bf16 v[38:41], a[136:139], a[64:67], v[38:41]// 0000000033F8: D3B50026 1C9A8188
	v_mfma_f32_16x16x32_bf16 v[38:41], a[140:143], a[68:71], v[38:41]// 000000003400: D3B50026 1C9A898C
	ds_read_b128 a[92:95], v21 offset:5120                     // 000000003408: DBFE1400 5C000015
	ds_read_b128 a[96:99], v21 offset:6144                     // 000000003410: DBFE1800 60000015
	ds_read_b128 a[100:103], v21 offset:7168                   // 000000003418: DBFE1C00 64000015
	ds_read_b128 a[104:107], v21 offset:8192                   // 000000003420: DBFE2000 68000015
	ds_read_b128 a[108:111], v21 offset:9216                   // 000000003428: DBFE2400 6C000015
	ds_read_b128 a[112:115], v21 offset:10240                  // 000000003430: DBFE2800 70000015
	ds_read_b128 a[116:119], v21 offset:11264                  // 000000003438: DBFE2C00 74000015
	ds_read_b128 a[120:123], v21 offset:12288                  // 000000003440: DBFE3000 78000015
	ds_read_b128 a[124:127], v21 offset:13312                  // 000000003448: DBFE3400 7C000015
	ds_read_b128 a[128:131], v21 offset:14336                  // 000000003450: DBFE3800 80000015
	ds_read_b128 a[132:135], v21 offset:15360                  // 000000003458: DBFE3C00 84000015
	ds_read_b128 a[136:139], v21 offset:16384                  // 000000003460: DBFE4000 88000015
	ds_read_b128 a[140:143], v21 offset:17408                  // 000000003468: DBFE4400 8C000015
	s_cmp_le_i32 s83, s82                                      // 000000003470: BF055253
	s_cbranch_scc1 label_1070                                  // 000000003474: BF85003E
	v_mov_b32_e32 v28, s82                                     // 000000003478: 7E380252
	s_lshl_b32 s56, s2, 1                                      // 00000000347C: 8E388102
	s_lshr_b32 s57, s7, 1                                      // 000000003480: 8F398107
	s_add_u32 s56, s56, s57                                    // 000000003484: 80383938
	v_add_u32_e32 v28, s56, v28                                // 000000003488: 68383838
	s_sub_u32 s56, s83, 31                                     // 00000000348C: 80B89F53
	v_lshrrev_b32_e32 v18, 4, v0                               // 000000003490: 20240084
	v_mul_i32_i24_e32 v18, 4, v18                              // 000000003494: 0C242484
	v_add_u32_e32 v18, s56, v18                                // 000000003498: 68242438
	v_add_u32_e32 v19, 1, v18                                  // 00000000349C: 68262481
	v_add_u32_e32 v20, 2, v18                                  // 0000000034A0: 68282482
	v_add_u32_e32 v21, 3, v18                                  // 0000000034A4: 682A2483
	v_mov_b32_e32 v29, 0xff800000                              // 0000000034A8: 7E3A02FF FF800000
	v_cmp_le_u32_e64 s[36:37], v18, v28                        // 0000000034B0: D0CB0024 00023912
	v_add_u32_e32 v18, 16, v18                                 // 0000000034B8: 68242490
	s_nop 0                                                    // 0000000034BC: BF800000
	v_cndmask_b32_e64 v34, v29, v34, s[36:37]                  // 0000000034C0: D1000022 0092451D
	v_cmp_le_u32_e64 s[36:37], v19, v28                        // 0000000034C8: D0CB0024 00023913
	v_add_u32_e32 v19, 16, v19                                 // 0000000034D0: 68262690
	s_nop 0                                                    // 0000000034D4: BF800000
	v_cndmask_b32_e64 v35, v29, v35, s[36:37]                  // 0000000034D8: D1000023 0092471D
	v_cmp_le_u32_e64 s[36:37], v20, v28                        // 0000000034E0: D0CB0024 00023914
	v_add_u32_e32 v20, 16, v20                                 // 0000000034E8: 68282890
	s_nop 0                                                    // 0000000034EC: BF800000
	v_cndmask_b32_e64 v36, v29, v36, s[36:37]                  // 0000000034F0: D1000024 0092491D
	v_cmp_le_u32_e64 s[36:37], v21, v28                        // 0000000034F8: D0CB0024 00023915
	v_add_u32_e32 v21, 16, v21                                 // 000000003500: 682A2A90
	s_nop 0                                                    // 000000003504: BF800000
	v_cndmask_b32_e64 v37, v29, v37, s[36:37]                  // 000000003508: D1000025 00924B1D
	v_cmp_le_u32_e64 s[36:37], v18, v28                        // 000000003510: D0CB0024 00023912
	v_add_u32_e32 v18, 16, v18                                 // 000000003518: 68242490
	s_nop 0                                                    // 00000000351C: BF800000
	v_cndmask_b32_e64 v38, v29, v38, s[36:37]                  // 000000003520: D1000026 00924D1D
	v_cmp_le_u32_e64 s[36:37], v19, v28                        // 000000003528: D0CB0024 00023913
	v_add_u32_e32 v19, 16, v19                                 // 000000003530: 68262690
	s_nop 0                                                    // 000000003534: BF800000
	v_cndmask_b32_e64 v39, v29, v39, s[36:37]                  // 000000003538: D1000027 00924F1D
	v_cmp_le_u32_e64 s[36:37], v20, v28                        // 000000003540: D0CB0024 00023914
	v_add_u32_e32 v20, 16, v20                                 // 000000003548: 68282890
	s_nop 0                                                    // 00000000354C: BF800000
	v_cndmask_b32_e64 v40, v29, v40, s[36:37]                  // 000000003550: D1000028 0092511D
	v_cmp_le_u32_e64 s[36:37], v21, v28                        // 000000003558: D0CB0024 00023915
	v_add_u32_e32 v21, 16, v21                                 // 000000003560: 682A2A90
	s_nop 0                                                    // 000000003564: BF800000
	v_cndmask_b32_e64 v41, v29, v41, s[36:37]                  // 000000003568: D1000029 0092531D

0000000000003570 <label_1070>:
	s_add_u32 s83, s84, s83                                    // 000000003570: 80535354
	s_nop 2                                                    // 000000003574: BF800002
	v_mov_b32_e32 v29, v34                                     // 000000003578: 7E3A0322
	v_max3_f32 v29, v34, v35, v29                              // 00000000357C: D1D3001D 04764722
	v_max3_f32 v29, v36, v37, v29                              // 000000003584: D1D3001D 04764B24
	v_max3_f32 v29, v38, v39, v29                              // 00000000358C: D1D3001D 04764F26
	v_max3_f32 v29, v40, v41, v29                              // 000000003594: D1D3001D 04765328
	v_mov_b32_e32 v28, v29                                     // 00000000359C: 7E38031D
	v_mov_b32_e32 v29, v29                                     // 0000000035A0: 7E3A031D
	s_nop 1                                                    // 0000000035A4: BF800001
	v_permlane16_swap_b32_e32 v28, v29                         // 0000000035A8: 7E38B31D
	v_mov_b32_e32 v31, v28                                     // 0000000035AC: 7E3E031C
	v_mov_b32_e32 v30, v29                                     // 0000000035B0: 7E3C031D
	s_nop 1                                                    // 0000000035B4: BF800001
	v_permlane32_swap_b32_e32 v28, v29                         // 0000000035B8: 7E38B51D
	v_permlane32_swap_b32_e32 v30, v31                         // 0000000035BC: 7E3CB51F
	v_max3_f32 v29, v28, v29, v29                              // 0000000035C0: D1D3001D 04763B1C
	v_max3_f32 v29, v30, v31, v29                              // 0000000035C8: D1D3001D 04763F1E
	v_mov_b32_e32 v28, 0xff800000                              // 0000000035D0: 7E3802FF FF800000
	v_cmp_eq_u32_e64 s[36:37], v28, v2                         // 0000000035D8: D0CA0024 0002051C
	v_max_f32_e32 v29, v29, v2                                 // 0000000035E0: 163A051D
	v_sub_f32_e32 v16, v2, v29                                 // 0000000035E4: 04203B02
	v_cndmask_b32_e64 v16, v16, 0, s[36:37]                    // 0000000035E8: D1000010 00910110
	v_mov_b32_e32 v2, v29                                      // 0000000035F0: 7E04031D
	v_mul_f32_e32 v29, s5, v29                                 // 0000000035F4: 0A3A3A05
	v_mul_f32_e32 v16, s5, v16                                 // 0000000035F8: 0A202005
	v_exp_f32_e32 v16, v16                                     // 0000000035FC: 7E204110
	v_fma_f32 v34, v34, s5, -v29                               // 000000003600: D1CB0022 84740B22
	v_fma_f32 v35, v35, s5, -v29                               // 000000003608: D1CB0023 84740B23
	v_fma_f32 v36, v36, s5, -v29                               // 000000003610: D1CB0024 84740B24
	v_fma_f32 v37, v37, s5, -v29                               // 000000003618: D1CB0025 84740B25
	v_fma_f32 v38, v38, s5, -v29                               // 000000003620: D1CB0026 84740B26
	v_fma_f32 v39, v39, s5, -v29                               // 000000003628: D1CB0027 84740B27
	v_fma_f32 v40, v40, s5, -v29                               // 000000003630: D1CB0028 84740B28
	v_fma_f32 v41, v41, s5, -v29                               // 000000003638: D1CB0029 84740B29
	v_exp_f32_e32 v34, v34                                     // 000000003640: 7E444122
	v_exp_f32_e32 v35, v35                                     // 000000003644: 7E464123
	v_exp_f32_e32 v36, v36                                     // 000000003648: 7E484124
	v_exp_f32_e32 v37, v37                                     // 00000000364C: 7E4A4125
	v_exp_f32_e32 v38, v38                                     // 000000003650: 7E4C4126
	v_exp_f32_e32 v39, v39                                     // 000000003654: 7E4E4127
	v_exp_f32_e32 v40, v40                                     // 000000003658: 7E504128
	v_exp_f32_e32 v41, v41                                     // 00000000365C: 7E524129
	v_mul_f32_e32 v4, v16, v4                                  // 000000003660: 0A080910
	v_mov_b32_e32 v28, v34                                     // 000000003664: 7E380322
	v_add_f32_e32 v28, v35, v28                                // 000000003668: 02383923
	v_add_f32_e32 v28, v36, v28                                // 00000000366C: 02383924
	v_add_f32_e32 v28, v37, v28                                // 000000003670: 02383925
	v_add_f32_e32 v28, v38, v28                                // 000000003674: 02383926
	;; [unrolled: 1-line block ×3, first 2 shown]
	v_add_f32_e32 v28, v40, v28                                // 00000000367C: 02383928
	v_add_f32_e32 v28, v41, v28                                // 000000003680: 02383929
	v_add_f32_e32 v4, v28, v4                                  // 000000003684: 0208091C
	v_cvt_pk_bf16_f32 v34, v34, v35                            // 000000003688: D2680022 00024722
	v_cvt_pk_bf16_f32 v35, v36, v37                            // 000000003690: D2680023 00024B24
	v_cvt_pk_bf16_f32 v36, v38, v39                            // 000000003698: D2680024 00024F26
	v_cvt_pk_bf16_f32 v37, v40, v41                            // 0000000036A0: D2680025 00025328
	s_nop 0                                                    // 0000000036A8: BF800000
	v_permlane32_swap_b32_e32 v34, v36                         // 0000000036AC: 7E44B524
	v_permlane32_swap_b32_e32 v35, v37                         // 0000000036B0: 7E46B525
	s_nop 0                                                    // 0000000036B4: BF800000
	v_permlane16_swap_b32_e32 v34, v36                         // 0000000036B8: 7E44B324
	v_permlane16_swap_b32_e32 v35, v37                         // 0000000036BC: 7E46B325
	s_addk_i32 s70, 0x1                                        // 0000000036C0: B7460001
	s_cmp_eq_u32 s71, s70                                      // 0000000036C4: BF064647
	s_cbranch_scc1 label_60E8                                  // 0000000036C8: BF8513C7
	s_waitcnt lgkmcnt(4)                                       // 0000000036CC: BF8CC47F
	v_mfma_f32_16x16x32_bf16 v[42:45], a[72:75], a[0:3], 0     // 0000000036D0: D3B5002A 1A020148
	v_mul_u32_u24_e64 v32, v25, s68                            // 0000000036D8: D1080020 00008919
	v_add_u32_e32 v32, v32, v1                                 // 0000000036E0: 68400320
	buffer_load_dword v23, v26, s[24:27], 0 offen              // 0000000036E4: E0501000 8006171A
	v_mfma_f32_16x16x32_bf16 v[42:45], a[76:79], a[4:7], v[42:45]// 0000000036EC: D3B5002A 1CAA094C
	s_mov_b32 s56, 0xb000                                      // 0000000036F4: BEB800FF 0000B000
	s_mul_i32 s57, s7, 0x2400                                  // 0000000036FC: 9239FF07 00002400
	s_add_u32 m0, s56, s57                                     // 000000003704: 807C3938
	buffer_load_dwordx4 v32, s[20:23], 0 offen lds             // 000000003708: E05D1000 80050020
	s_add_i32 m0, m0, 0x3c0                                    // 000000003710: 817CFF7C 000003C0
	v_mfma_f32_16x16x32_bf16 v[42:45], a[80:83], a[8:11], v[42:45]// 000000003718: D3B5002A 1CAA1150
	v_mfma_f32_16x16x32_bf16 v[42:45], a[84:87], a[12:15], v[42:45]// 000000003720: D3B5002A 1CAA1954
	buffer_load_dwordx4 v32, s[20:23], 0 offen offset:64 lds   // 000000003728: E05D1040 80050020
	s_add_i32 m0, m0, 0x3c0                                    // 000000003730: 817CFF7C 000003C0
	v_mfma_f32_16x16x32_bf16 v[42:45], a[88:91], a[16:19], v[42:45]// 000000003738: D3B5002A 1CAA2158
	ds_read_b128 a[72:75], v21 offset:18432                    // 000000003740: DBFE4800 48000015
	v_mfma_f32_16x16x32_bf16 v[42:45], a[92:95], a[20:23], v[42:45]// 000000003748: D3B5002A 1CAA295C
	buffer_load_dwordx4 v32, s[20:23], 0 offen offset:128 lds  // 000000003750: E05D1080 80050020
	s_add_i32 m0, m0, 0x3c0                                    // 000000003758: 817CFF7C 000003C0
	v_mfma_f32_16x16x32_bf16 v[42:45], a[96:99], a[24:27], v[42:45]// 000000003760: D3B5002A 1CAA3160
	ds_read_b128 a[76:79], v21 offset:19456                    // 000000003768: DBFE4C00 4C000015
	v_mfma_f32_16x16x32_bf16 v[42:45], a[100:103], a[28:31], v[42:45]// 000000003770: D3B5002A 1CAA3964
	buffer_load_dwordx4 v32, s[20:23], 0 offen offset:192 lds  // 000000003778: E05D10C0 80050020
	s_add_i32 m0, m0, 0x3c0                                    // 000000003780: 817CFF7C 000003C0
	v_mfma_f32_16x16x32_bf16 v[42:45], a[104:107], a[32:35], v[42:45]// 000000003788: D3B5002A 1CAA4168
	ds_read_b128 a[80:83], v21 offset:20480                    // 000000003790: DBFE5000 50000015
	v_mfma_f32_16x16x32_bf16 v[42:45], a[108:111], a[36:39], v[42:45]// 000000003798: D3B5002A 1CAA496C
	buffer_load_dwordx4 v32, s[20:23], 0 offen offset:256 lds  // 0000000037A0: E05D1100 80050020
	s_add_i32 m0, m0, 0x3c0                                    // 0000000037A8: 817CFF7C 000003C0
	v_mfma_f32_16x16x32_bf16 v[42:45], a[112:115], a[40:43], v[42:45]// 0000000037B0: D3B5002A 1CAA5170
	ds_read_b128 a[84:87], v21 offset:21504                    // 0000000037B8: DBFE5400 54000015
	v_mfma_f32_16x16x32_bf16 v[42:45], a[116:119], a[44:47], v[42:45]// 0000000037C0: D3B5002A 1CAA5974
	buffer_load_dwordx4 v32, s[20:23], 0 offen offset:320 lds  // 0000000037C8: E05D1140 80050020
	s_add_i32 m0, m0, 0x3c0                                    // 0000000037D0: 817CFF7C 000003C0
	v_mfma_f32_16x16x32_bf16 v[42:45], a[120:123], a[48:51], v[42:45]// 0000000037D8: D3B5002A 1CAA6178
	ds_read_b128 a[88:91], v21 offset:22528                    // 0000000037E0: DBFE5800 58000015
	v_mfma_f32_16x16x32_bf16 v[42:45], a[124:127], a[52:55], v[42:45]// 0000000037E8: D3B5002A 1CAA697C
	buffer_load_dwordx4 v32, s[20:23], 0 offen offset:384 lds  // 0000000037F0: E05D1180 80050020
	s_add_i32 m0, m0, 0x3c0                                    // 0000000037F8: 817CFF7C 000003C0
	v_mfma_f32_16x16x32_bf16 v[42:45], a[128:131], a[56:59], v[42:45]// 000000003800: D3B5002A 1CAA7180
	ds_read_b128 a[92:95], v21 offset:23552                    // 000000003808: DBFE5C00 5C000015
	v_mfma_f32_16x16x32_bf16 v[42:45], a[132:135], a[60:63], v[42:45]// 000000003810: D3B5002A 1CAA7984
	buffer_load_dwordx4 v32, s[20:23], 0 offen offset:448 lds  // 000000003818: E05D11C0 80050020
	s_add_i32 m0, m0, 0x3c0                                    // 000000003820: 817CFF7C 000003C0
	v_mfma_f32_16x16x32_bf16 v[42:45], a[136:139], a[64:67], v[42:45]// 000000003828: D3B5002A 1CAA8188
	ds_read_b128 a[96:99], v21 offset:24576                    // 000000003830: DBFE6000 60000015
	v_mfma_f32_16x16x32_bf16 v[42:45], a[140:143], a[68:71], v[42:45]// 000000003838: D3B5002A 1CAA898C
	buffer_load_dwordx4 v32, s[20:23], 0 offen offset:512 lds  // 000000003840: E05D1200 80050020
	s_add_i32 m0, m0, 0x3c0                                    // 000000003848: 817CFF7C 000003C0
	ds_read_b128 a[100:103], v21 offset:25600                  // 000000003850: DBFE6400 64000015
	ds_read_b128 a[104:107], v21 offset:26624                  // 000000003858: DBFE6800 68000015
	ds_read_b128 a[108:111], v21 offset:27648                  // 000000003860: DBFE6C00 6C000015
	ds_read_b128 a[112:115], v21 offset:28672                  // 000000003868: DBFE7000 70000015
	ds_read_b128 a[116:119], v21 offset:29696                  // 000000003870: DBFE7400 74000015
	ds_read_b128 a[120:123], v21 offset:30720                  // 000000003878: DBFE7800 78000015
	ds_read_b128 a[124:127], v21 offset:31744                  // 000000003880: DBFE7C00 7C000015
	ds_read_b128 a[128:131], v21 offset:32768                  // 000000003888: DBFE8000 80000015
	ds_read_b128 a[132:135], v21 offset:33792                  // 000000003890: DBFE8400 84000015
	ds_read_b128 a[136:139], v21 offset:34816                  // 000000003898: DBFE8800 88000015
	ds_read_b128 a[140:143], v21 offset:35840                  // 0000000038A0: DBFE8C00 8C000015
	v_add_u32_e32 v26, s73, v26                                // 0000000038A8: 68343449
	s_waitcnt lgkmcnt(4)                                       // 0000000038AC: BF8CC47F
	v_mfma_f32_16x16x32_bf16 v[46:49], a[72:75], a[0:3], 0     // 0000000038B0: D3B5002E 1A020148
	ds_read_b64_tr_b16 a[144:145], v12                         // 0000000038B8: DBC60000 9000000C
	ds_read_b64_tr_b16 a[146:147], v12 offset:256              // 0000000038C0: DBC60100 9200000C
	ds_read_b64_tr_b16 a[148:149], v13                         // 0000000038C8: DBC60000 9400000D
	ds_read_b64_tr_b16 a[150:151], v13 offset:256              // 0000000038D0: DBC60100 9600000D
	v_mfma_f32_16x16x32_bf16 v[46:49], a[76:79], a[4:7], v[46:49]// 0000000038D8: D3B5002E 1CBA094C
	v_mfma_f32_16x16x32_bf16 v[46:49], a[80:83], a[8:11], v[46:49]// 0000000038E0: D3B5002E 1CBA1150
	ds_read_b64_tr_b16 a[152:153], v12 offset:1024             // 0000000038E8: DBC60400 9800000C
	ds_read_b64_tr_b16 a[154:155], v12 offset:1280             // 0000000038F0: DBC60500 9A00000C
	ds_read_b64_tr_b16 a[156:157], v13 offset:1024             // 0000000038F8: DBC60400 9C00000D
	ds_read_b64_tr_b16 a[158:159], v13 offset:1280             // 000000003900: DBC60500 9E00000D
	v_mfma_f32_16x16x32_bf16 v[46:49], a[84:87], a[12:15], v[46:49]// 000000003908: D3B5002E 1CBA1954
	v_mfma_f32_16x16x32_bf16 v[46:49], a[88:91], a[16:19], v[46:49]// 000000003910: D3B5002E 1CBA2158
	ds_read_b64_tr_b16 a[160:161], v12 offset:2048             // 000000003918: DBC60800 A000000C
	ds_read_b64_tr_b16 a[162:163], v12 offset:2304             // 000000003920: DBC60900 A200000C
	ds_read_b64_tr_b16 a[164:165], v13 offset:2048             // 000000003928: DBC60800 A400000D
	ds_read_b64_tr_b16 a[166:167], v13 offset:2304             // 000000003930: DBC60900 A600000D
	v_mfma_f32_16x16x32_bf16 v[46:49], a[92:95], a[20:23], v[46:49]// 000000003938: D3B5002E 1CBA295C
	v_mfma_f32_16x16x32_bf16 v[46:49], a[96:99], a[24:27], v[46:49]// 000000003940: D3B5002E 1CBA3160
	ds_read_b64_tr_b16 a[168:169], v12 offset:3072             // 000000003948: DBC60C00 A800000C
	ds_read_b64_tr_b16 a[170:171], v12 offset:3328             // 000000003950: DBC60D00 AA00000C
	ds_read_b64_tr_b16 a[172:173], v13 offset:3072             // 000000003958: DBC60C00 AC00000D
	ds_read_b64_tr_b16 a[174:175], v13 offset:3328             // 000000003960: DBC60D00 AE00000D
	v_mfma_f32_16x16x32_bf16 v[46:49], a[100:103], a[28:31], v[46:49]// 000000003968: D3B5002E 1CBA3964
	v_mfma_f32_16x16x32_bf16 v[46:49], a[104:107], a[32:35], v[46:49]// 000000003970: D3B5002E 1CBA4168
	ds_read_b64_tr_b16 a[176:177], v12 offset:4096             // 000000003978: DBC61000 B000000C
	ds_read_b64_tr_b16 a[178:179], v12 offset:4352             // 000000003980: DBC61100 B200000C
	ds_read_b64_tr_b16 a[180:181], v13 offset:4096             // 000000003988: DBC61000 B400000D
	ds_read_b64_tr_b16 a[182:183], v13 offset:4352             // 000000003990: DBC61100 B600000D
	v_mfma_f32_16x16x32_bf16 v[46:49], a[108:111], a[36:39], v[46:49]// 000000003998: D3B5002E 1CBA496C
	v_mfma_f32_16x16x32_bf16 v[46:49], a[112:115], a[40:43], v[46:49]// 0000000039A0: D3B5002E 1CBA5170
	ds_read_b64_tr_b16 a[184:185], v12 offset:5120             // 0000000039A8: DBC61400 B800000C
	ds_read_b64_tr_b16 a[186:187], v12 offset:5376             // 0000000039B0: DBC61500 BA00000C
	ds_read_b64_tr_b16 a[188:189], v13 offset:5120             // 0000000039B8: DBC61400 BC00000D
	ds_read_b64_tr_b16 a[190:191], v13 offset:5376             // 0000000039C0: DBC61500 BE00000D
	v_mfma_f32_16x16x32_bf16 v[46:49], a[116:119], a[44:47], v[46:49]// 0000000039C8: D3B5002E 1CBA5974
	v_mfma_f32_16x16x32_bf16 v[46:49], a[120:123], a[48:51], v[46:49]// 0000000039D0: D3B5002E 1CBA6178
	ds_read_b64_tr_b16 a[192:193], v12 offset:6144             // 0000000039D8: DBC61800 C000000C
	ds_read_b64_tr_b16 a[194:195], v12 offset:6400             // 0000000039E0: DBC61900 C200000C
	ds_read_b64_tr_b16 a[196:197], v13 offset:6144             // 0000000039E8: DBC61800 C400000D
	ds_read_b64_tr_b16 a[198:199], v13 offset:6400             // 0000000039F0: DBC61900 C600000D
	v_mfma_f32_16x16x32_bf16 v[46:49], a[124:127], a[52:55], v[46:49]// 0000000039F8: D3B5002E 1CBA697C
	v_mfma_f32_16x16x32_bf16 v[46:49], a[128:131], a[56:59], v[46:49]// 000000003A00: D3B5002E 1CBA7180
	ds_read_b64_tr_b16 a[200:201], v12 offset:7168             // 000000003A08: DBC61C00 C800000C
	ds_read_b64_tr_b16 a[202:203], v12 offset:7424             // 000000003A10: DBC61D00 CA00000C
	ds_read_b64_tr_b16 a[204:205], v13 offset:7168             // 000000003A18: DBC61C00 CC00000D
	ds_read_b64_tr_b16 a[206:207], v13 offset:7424             // 000000003A20: DBC61D00 CE00000D
	v_mfma_f32_16x16x32_bf16 v[46:49], a[132:135], a[60:63], v[46:49]// 000000003A28: D3B5002E 1CBA7984
	v_mfma_f32_16x16x32_bf16 v[46:49], a[136:139], a[64:67], v[46:49]// 000000003A30: D3B5002E 1CBA8188
	v_mfma_f32_16x16x32_bf16 v[46:49], a[140:143], a[68:71], v[46:49]// 000000003A38: D3B5002E 1CBA898C
	s_addk_i32 s70, 0x1                                        // 000000003A40: B7460001
	s_cmp_eq_u32 s71, s70                                      // 000000003A44: BF064647
	s_cbranch_scc1 label_63F0                                  // 000000003A48: BF8513A9
	s_cmp_lt_i32 s7, 2                                         // 000000003A4C: BF048207
	s_cbranch_scc0 label_3B24                                  // 000000003A50: BF840974

0000000000003a54 <label_1554>:
	s_waitcnt lgkmcnt(0)                                       // 000000003A54: BF8CC07F
	v_mul_u32_u24_e64 v32, v22, s68                            // 000000003A58: D1080020 00008916
	v_add_u32_e32 v32, v32, v1                                 // 000000003A60: 68400320
	v_mfma_f32_16x16x32_bf16 v[50:53], a[144:147], v[34:37], v[50:53]// 000000003A64: D3B50032 0CCA4590
	v_mov_b32_e32 v29, v42                                     // 000000003A6C: 7E3A032A
	v_max3_f32 v29, v42, v43, v29                              // 000000003A70: D1D3001D 0476572A
	v_mfma_f32_16x16x32_bf16 v[54:57], a[148:151], v[34:37], v[54:57]// 000000003A78: D3B50036 0CDA4594
	ds_read_b64_tr_b16 a[144:145], v12 offset:8192             // 000000003A80: DBC62000 9000000C
	ds_read_b64_tr_b16 a[146:147], v12 offset:8448             // 000000003A88: DBC62100 9200000C
	v_mfma_f32_16x16x32_bf16 v[58:61], a[152:155], v[34:37], v[58:61]// 000000003A90: D3B5003A 0CEA4598
	v_max3_f32 v29, v44, v45, v29                              // 000000003A98: D1D3001D 04765B2C
	v_max3_f32 v29, v46, v47, v29                              // 000000003AA0: D1D3001D 04765F2E
	v_mfma_f32_16x16x32_bf16 v[62:65], a[156:159], v[34:37], v[62:65]// 000000003AA8: D3B5003E 0CFA459C
	ds_read_b64_tr_b16 a[148:149], v13 offset:8192             // 000000003AB0: DBC62000 9400000D
	ds_read_b64_tr_b16 a[150:151], v13 offset:8448             // 000000003AB8: DBC62100 9600000D
	v_mfma_f32_16x16x32_bf16 v[66:69], a[160:163], v[34:37], v[66:69]// 000000003AC0: D3B50042 0D0A45A0
	v_max3_f32 v29, v48, v49, v29                              // 000000003AC8: D1D3001D 04766330
	v_mov_b32_e32 v28, v29                                     // 000000003AD0: 7E38031D
	v_mfma_f32_16x16x32_bf16 v[70:73], a[164:167], v[34:37], v[70:73]// 000000003AD4: D3B50046 0D1A45A4
	ds_read_b64_tr_b16 a[152:153], v12 offset:9216             // 000000003ADC: DBC62400 9800000C
	ds_read_b64_tr_b16 a[154:155], v12 offset:9472             // 000000003AE4: DBC62500 9A00000C
	v_mfma_f32_16x16x32_bf16 v[74:77], a[168:171], v[34:37], v[74:77]// 000000003AEC: D3B5004A 0D2A45A8
	v_mov_b32_e32 v29, v29                                     // 000000003AF4: 7E3A031D
	s_nop 1                                                    // 000000003AF8: BF800001
	v_mfma_f32_16x16x32_bf16 v[78:81], a[172:175], v[34:37], v[78:81]// 000000003AFC: D3B5004E 0D3A45AC
	ds_read_b64_tr_b16 a[156:157], v13 offset:9216             // 000000003B04: DBC62400 9C00000D
	ds_read_b64_tr_b16 a[158:159], v13 offset:9472             // 000000003B0C: DBC62500 9E00000D
	v_mfma_f32_16x16x32_bf16 v[82:85], a[176:179], v[34:37], v[82:85]// 000000003B14: D3B50052 0D4A45B0
	v_permlane16_swap_b32_e32 v28, v29                         // 000000003B1C: 7E38B31D
	v_mfma_f32_16x16x32_bf16 v[86:89], a[180:183], v[34:37], v[86:89]// 000000003B20: D3B50056 0D5A45B4
	ds_read_b64_tr_b16 a[160:161], v12 offset:10240            // 000000003B28: DBC62800 A000000C
	ds_read_b64_tr_b16 a[162:163], v12 offset:10496            // 000000003B30: DBC62900 A200000C
	v_mfma_f32_16x16x32_bf16 v[90:93], a[184:187], v[34:37], v[90:93]// 000000003B38: D3B5005A 0D6A45B8
	v_mov_b32_e32 v31, v28                                     // 000000003B40: 7E3E031C
	v_mov_b32_e32 v30, v29                                     // 000000003B44: 7E3C031D
	v_mfma_f32_16x16x32_bf16 v[94:97], a[188:191], v[34:37], v[94:97]// 000000003B48: D3B5005E 0D7A45BC
	ds_read_b64_tr_b16 a[164:165], v13 offset:10240            // 000000003B50: DBC62800 A400000D
	ds_read_b64_tr_b16 a[166:167], v13 offset:10496            // 000000003B58: DBC62900 A600000D
	v_mfma_f32_16x16x32_bf16 v[98:101], a[192:195], v[34:37], v[98:101]// 000000003B60: D3B50062 0D8A45C0
	s_nop 1                                                    // 000000003B68: BF800001
	v_permlane32_swap_b32_e32 v28, v29                         // 000000003B6C: 7E38B51D
	v_mfma_f32_16x16x32_bf16 v[102:105], a[196:199], v[34:37], v[102:105]// 000000003B70: D3B50066 0D9A45C4
	ds_read_b64_tr_b16 a[168:169], v12 offset:11264            // 000000003B78: DBC62C00 A800000C
	ds_read_b64_tr_b16 a[170:171], v12 offset:11520            // 000000003B80: DBC62D00 AA00000C
	v_mfma_f32_16x16x32_bf16 v[106:109], a[200:203], v[34:37], v[106:109]// 000000003B88: D3B5006A 0DAA45C8
	v_permlane32_swap_b32_e32 v30, v31                         // 000000003B90: 7E3CB51F
	v_mfma_f32_16x16x32_bf16 v[110:113], a[204:207], v[34:37], v[110:113]// 000000003B94: D3B5006E 0DBA45CC
	ds_read_b64_tr_b16 a[172:173], v13 offset:11264            // 000000003B9C: DBC62C00 AC00000D
	ds_read_b64_tr_b16 a[174:175], v13 offset:11520            // 000000003BA4: DBC62D00 AE00000D
	ds_read_b64_tr_b16 a[176:177], v12 offset:12288            // 000000003BAC: DBC63000 B000000C
	ds_read_b64_tr_b16 a[178:179], v12 offset:12544            // 000000003BB4: DBC63100 B200000C
	ds_read_b64_tr_b16 a[180:181], v13 offset:12288            // 000000003BBC: DBC63000 B400000D
	ds_read_b64_tr_b16 a[182:183], v13 offset:12544            // 000000003BC4: DBC63100 B600000D
	ds_read_b64_tr_b16 a[184:185], v12 offset:13312            // 000000003BCC: DBC63400 B800000C
	ds_read_b64_tr_b16 a[186:187], v12 offset:13568            // 000000003BD4: DBC63500 BA00000C
	ds_read_b64_tr_b16 a[188:189], v13 offset:13312            // 000000003BDC: DBC63400 BC00000D
	ds_read_b64_tr_b16 a[190:191], v13 offset:13568            // 000000003BE4: DBC63500 BE00000D
	s_waitcnt lgkmcnt(0)                                       // 000000003BEC: BF8CC07F
	v_mfma_f32_16x16x32_bf16 v[114:117], a[144:147], v[34:37], v[114:117]// 000000003BF0: D3B50072 0DCA4590
	ds_read_b64_tr_b16 a[192:193], v12 offset:14336            // 000000003BF8: DBC63800 C000000C
	ds_read_b64_tr_b16 a[194:195], v12 offset:14592            // 000000003C00: DBC63900 C200000C
	v_mfma_f32_16x16x32_bf16 v[118:121], a[148:151], v[34:37], v[118:121]// 000000003C08: D3B50076 0DDA4594
	s_waitcnt vmcnt(10)                                        // 000000003C10: BF8C0F7A
	s_barrier                                                  // 000000003C14: BF8A0000
	ds_read_b128 a[72:75], v18                                 // 000000003C18: DBFE0000 48000012
	ds_read_b128 a[76:79], v18 offset:1024                     // 000000003C20: DBFE0400 4C000012
	v_mfma_f32_16x16x32_bf16 v[122:125], a[152:155], v[34:37], v[122:125]// 000000003C28: D3B5007A 0DEA4598
	ds_read_b64_tr_b16 a[196:197], v13 offset:14336            // 000000003C30: DBC63800 C400000D
	ds_read_b64_tr_b16 a[198:199], v13 offset:14592            // 000000003C38: DBC63900 C600000D
	v_mfma_f32_16x16x32_bf16 v[126:129], a[156:159], v[34:37], v[126:129]// 000000003C40: D3B5007E 0DFA459C
	ds_read_b128 a[80:83], v18 offset:2048                     // 000000003C48: DBFE0800 50000012
	ds_read_b128 a[84:87], v18 offset:3072                     // 000000003C50: DBFE0C00 54000012
	v_mfma_f32_16x16x32_bf16 v[130:133], a[160:163], v[34:37], v[130:133]// 000000003C58: D3B50082 0E0A45A0
	ds_read_b64_tr_b16 a[200:201], v12 offset:15360            // 000000003C60: DBC63C00 C800000C
	ds_read_b64_tr_b16 a[202:203], v12 offset:15616            // 000000003C68: DBC63D00 CA00000C
	v_mfma_f32_16x16x32_bf16 v[134:137], a[164:167], v[34:37], v[134:137]// 000000003C70: D3B50086 0E1A45A4
	ds_read_b128 a[88:91], v18 offset:4096                     // 000000003C78: DBFE1000 58000012
	ds_read_b128 a[92:95], v18 offset:5120                     // 000000003C80: DBFE1400 5C000012
	v_mfma_f32_16x16x32_bf16 v[138:141], a[168:171], v[34:37], v[138:141]// 000000003C88: D3B5008A 0E2A45A8
	ds_read_b64_tr_b16 a[204:205], v13 offset:15360            // 000000003C90: DBC63C00 CC00000D
	ds_read_b64_tr_b16 a[206:207], v13 offset:15616            // 000000003C98: DBC63D00 CE00000D
	v_mfma_f32_16x16x32_bf16 v[142:145], a[172:175], v[34:37], v[142:145]// 000000003CA0: D3B5008E 0E3A45AC
	ds_read_b128 a[96:99], v18 offset:6144                     // 000000003CA8: DBFE1800 60000012
	ds_read_b128 a[100:103], v18 offset:7168                   // 000000003CB0: DBFE1C00 64000012
	v_mfma_f32_16x16x32_bf16 v[146:149], a[176:179], v[34:37], v[146:149]// 000000003CB8: D3B50092 0E4A45B0
	v_max3_f32 v29, v28, v29, v29                              // 000000003CC0: D1D3001D 04763B1C
	v_max3_f32 v29, v30, v31, v29                              // 000000003CC8: D1D3001D 04763F1E
	v_mfma_f32_16x16x32_bf16 v[150:153], a[180:183], v[34:37], v[150:153]// 000000003CD0: D3B50096 0E5A45B4
	ds_read_b128 a[104:107], v18 offset:8192                   // 000000003CD8: DBFE2000 68000012
	ds_read_b128 a[108:111], v18 offset:9216                   // 000000003CE0: DBFE2400 6C000012
	v_mfma_f32_16x16x32_bf16 v[154:157], a[184:187], v[34:37], v[154:157]// 000000003CE8: D3B5009A 0E6A45B8
	v_mov_b32_e32 v28, 0xff800000                              // 000000003CF0: 7E3802FF FF800000
	v_cmp_eq_u32_e64 s[36:37], v28, v2                         // 000000003CF8: D0CA0024 0002051C
	v_mfma_f32_16x16x32_bf16 v[158:161], a[188:191], v[34:37], v[158:161]// 000000003D00: D3B5009E 0E7A45BC
	ds_read_b128 a[112:115], v18 offset:10240                  // 000000003D08: DBFE2800 70000012
	ds_read_b128 a[116:119], v18 offset:11264                  // 000000003D10: DBFE2C00 74000012
	v_mfma_f32_16x16x32_bf16 v[162:165], a[192:195], v[34:37], v[162:165]// 000000003D18: D3B500A2 0E8A45C0
	v_max_f32_e32 v29, v29, v2                                 // 000000003D20: 163A051D
	v_sub_f32_e32 v16, v2, v29                                 // 000000003D24: 04203B02
	v_mfma_f32_16x16x32_bf16 v[166:169], a[196:199], v[34:37], v[166:169]// 000000003D28: D3B500A6 0E9A45C4
	ds_read_b128 a[120:123], v18 offset:12288                  // 000000003D30: DBFE3000 78000012
	ds_read_b128 a[124:127], v18 offset:13312                  // 000000003D38: DBFE3400 7C000012
	v_mfma_f32_16x16x32_bf16 v[170:173], a[200:203], v[34:37], v[170:173]// 000000003D40: D3B500AA 0EAA45C8
	v_cndmask_b32_e64 v16, v16, 0, s[36:37]                    // 000000003D48: D1000010 00910110
	v_mov_b32_e32 v2, v29                                      // 000000003D50: 7E04031D
	v_mfma_f32_16x16x32_bf16 v[174:177], a[204:207], v[34:37], v[174:177]// 000000003D54: D3B500AE 0EBA45CC
	ds_read_b128 a[128:131], v18 offset:14336                  // 000000003D5C: DBFE3800 80000012
	ds_read_b128 a[132:135], v18 offset:15360                  // 000000003D64: DBFE3C00 84000012
	ds_read_b128 a[136:139], v18 offset:16384                  // 000000003D6C: DBFE4000 88000012
	ds_read_b128 a[140:143], v18 offset:17408                  // 000000003D74: DBFE4400 8C000012
	s_waitcnt lgkmcnt(0)                                       // 000000003D7C: BF8CC07F
	v_mfma_f32_16x16x32_bf16 v[34:37], a[72:75], a[0:3], 0     // 000000003D80: D3B50022 1A020148
	buffer_load_dword v24, v26, s[24:27], 0 offen              // 000000003D88: E0501000 8006181A
	v_mul_f32_e32 v29, s5, v29                                 // 000000003D90: 0A3A3A05
	s_mov_b32 s56, 0x14000                                     // 000000003D94: BEB800FF 00014000
	s_mul_i32 s57, s7, 0x2400                                  // 000000003D9C: 9239FF07 00002400
	s_add_u32 m0, s56, s57                                     // 000000003DA4: 807C3938
	buffer_load_dwordx4 v32, s[20:23], 0 offen lds             // 000000003DA8: E05D1000 80050020
	s_add_i32 m0, m0, 0x3c0                                    // 000000003DB0: 817CFF7C 000003C0
	v_mfma_f32_16x16x32_bf16 v[34:37], a[76:79], a[4:7], v[34:37]// 000000003DB8: D3B50022 1C8A094C
	buffer_load_dwordx4 v32, s[20:23], 0 offen offset:64 lds   // 000000003DC0: E05D1040 80050020
	s_add_i32 m0, m0, 0x3c0                                    // 000000003DC8: 817CFF7C 000003C0
	v_mfma_f32_16x16x32_bf16 v[34:37], a[80:83], a[8:11], v[34:37]// 000000003DD0: D3B50022 1C8A1150
	v_mul_f32_e32 v16, s5, v16                                 // 000000003DD8: 0A202005
	v_exp_f32_e32 v16, v16                                     // 000000003DDC: 7E204110
	v_mfma_f32_16x16x32_bf16 v[34:37], a[84:87], a[12:15], v[34:37]// 000000003DE0: D3B50022 1C8A1954
	v_add_u32_e32 v26, s73, v26                                // 000000003DE8: 68343449
	ds_read_b128 a[72:75], v18 offset:18432                    // 000000003DEC: DBFE4800 48000012
	ds_read_b128 a[76:79], v18 offset:19456                    // 000000003DF4: DBFE4C00 4C000012
	v_fma_f32 v42, v42, s5, -v29                               // 000000003DFC: D1CB002A 84740B2A
	v_mfma_f32_16x16x32_bf16 v[34:37], a[88:91], a[16:19], v[34:37]// 000000003E04: D3B50022 1C8A2158
	ds_read_b128 a[80:83], v18 offset:20480                    // 000000003E0C: DBFE5000 50000012
	ds_read_b128 a[84:87], v18 offset:21504                    // 000000003E14: DBFE5400 54000012
	v_fma_f32 v43, v43, s5, -v29                               // 000000003E1C: D1CB002B 84740B2B
	v_mfma_f32_16x16x32_bf16 v[34:37], a[92:95], a[20:23], v[34:37]// 000000003E24: D3B50022 1C8A295C
	buffer_load_dwordx4 v32, s[20:23], 0 offen offset:128 lds  // 000000003E2C: E05D1080 80050020
	s_add_i32 m0, m0, 0x3c0                                    // 000000003E34: 817CFF7C 000003C0
	v_mfma_f32_16x16x32_bf16 v[34:37], a[96:99], a[24:27], v[34:37]// 000000003E3C: D3B50022 1C8A3160
	v_fma_f32 v44, v44, s5, -v29                               // 000000003E44: D1CB002C 84740B2C
	v_fma_f32 v45, v45, s5, -v29                               // 000000003E4C: D1CB002D 84740B2D
	v_mfma_f32_16x16x32_bf16 v[34:37], a[100:103], a[28:31], v[34:37]// 000000003E54: D3B50022 1C8A3964
	ds_read_b128 a[88:91], v18 offset:22528                    // 000000003E5C: DBFE5800 58000012
	ds_read_b128 a[92:95], v18 offset:23552                    // 000000003E64: DBFE5C00 5C000012
	v_fma_f32 v46, v46, s5, -v29                               // 000000003E6C: D1CB002E 84740B2E
	v_mfma_f32_16x16x32_bf16 v[34:37], a[104:107], a[32:35], v[34:37]// 000000003E74: D3B50022 1C8A4168
	ds_read_b128 a[96:99], v18 offset:24576                    // 000000003E7C: DBFE6000 60000012
	ds_read_b128 a[100:103], v18 offset:25600                  // 000000003E84: DBFE6400 64000012
	v_fma_f32 v47, v47, s5, -v29                               // 000000003E8C: D1CB002F 84740B2F
	v_mfma_f32_16x16x32_bf16 v[34:37], a[108:111], a[36:39], v[34:37]// 000000003E94: D3B50022 1C8A496C
	buffer_load_dwordx4 v32, s[20:23], 0 offen offset:192 lds  // 000000003E9C: E05D10C0 80050020
	s_add_i32 m0, m0, 0x3c0                                    // 000000003EA4: 817CFF7C 000003C0
	v_mfma_f32_16x16x32_bf16 v[34:37], a[112:115], a[40:43], v[34:37]// 000000003EAC: D3B50022 1C8A5170
	v_fma_f32 v48, v48, s5, -v29                               // 000000003EB4: D1CB0030 84740B30
	v_fma_f32 v49, v49, s5, -v29                               // 000000003EBC: D1CB0031 84740B31
	v_mfma_f32_16x16x32_bf16 v[34:37], a[116:119], a[44:47], v[34:37]// 000000003EC4: D3B50022 1C8A5974
	v_exp_f32_e32 v42, v42                                     // 000000003ECC: 7E54412A
	v_mfma_f32_16x16x32_bf16 v[34:37], a[120:123], a[48:51], v[34:37]// 000000003ED0: D3B50022 1C8A6178
	ds_read_b128 a[104:107], v18 offset:26624                  // 000000003ED8: DBFE6800 68000012
	ds_read_b128 a[108:111], v18 offset:27648                  // 000000003EE0: DBFE6C00 6C000012
	v_exp_f32_e32 v43, v43                                     // 000000003EE8: 7E56412B
	v_mfma_f32_16x16x32_bf16 v[34:37], a[124:127], a[52:55], v[34:37]// 000000003EEC: D3B50022 1C8A697C
	buffer_load_dwordx4 v32, s[20:23], 0 offen offset:256 lds  // 000000003EF4: E05D1100 80050020
	s_add_i32 m0, m0, 0x3c0                                    // 000000003EFC: 817CFF7C 000003C0
	v_mfma_f32_16x16x32_bf16 v[34:37], a[128:131], a[56:59], v[34:37]// 000000003F04: D3B50022 1C8A7180
	v_exp_f32_e32 v44, v44                                     // 000000003F0C: 7E58412C
	v_mfma_f32_16x16x32_bf16 v[34:37], a[132:135], a[60:63], v[34:37]// 000000003F10: D3B50022 1C8A7984
	ds_read_b128 a[112:115], v18 offset:28672                  // 000000003F18: DBFE7000 70000012
	ds_read_b128 a[116:119], v18 offset:29696                  // 000000003F20: DBFE7400 74000012
	v_exp_f32_e32 v45, v45                                     // 000000003F28: 7E5A412D
	v_mfma_f32_16x16x32_bf16 v[34:37], a[136:139], a[64:67], v[34:37]// 000000003F2C: D3B50022 1C8A8188
	ds_read_b128 a[120:123], v18 offset:30720                  // 000000003F34: DBFE7800 78000012
	ds_read_b128 a[124:127], v18 offset:31744                  // 000000003F3C: DBFE7C00 7C000012
	v_exp_f32_e32 v46, v46                                     // 000000003F44: 7E5C412E
	v_mfma_f32_16x16x32_bf16 v[34:37], a[140:143], a[68:71], v[34:37]// 000000003F48: D3B50022 1C8A898C
	ds_read_b128 a[128:131], v18 offset:32768                  // 000000003F50: DBFE8000 80000012
	ds_read_b128 a[132:135], v18 offset:33792                  // 000000003F58: DBFE8400 84000012
	v_exp_f32_e32 v47, v47                                     // 000000003F60: 7E5E412F
	ds_read_b128 a[136:139], v18 offset:34816                  // 000000003F64: DBFE8800 88000012
	ds_read_b128 a[140:143], v18 offset:35840                  // 000000003F6C: DBFE8C00 8C000012
	v_exp_f32_e32 v48, v48                                     // 000000003F74: 7E604130
	v_exp_f32_e32 v49, v49                                     // 000000003F78: 7E624131
	v_mul_f32_e32 v4, v16, v4                                  // 000000003F7C: 0A080910
	v_mov_b32_e32 v28, v42                                     // 000000003F80: 7E38032A
	v_add_f32_e32 v28, v43, v28                                // 000000003F84: 0238392B
	v_add_f32_e32 v28, v44, v28                                // 000000003F88: 0238392C
	v_add_f32_e32 v28, v45, v28                                // 000000003F8C: 0238392D
	v_add_f32_e32 v28, v46, v28                                // 000000003F90: 0238392E
	v_add_f32_e32 v28, v47, v28                                // 000000003F94: 0238392F
	v_add_f32_e32 v28, v48, v28                                // 000000003F98: 02383930
	v_add_f32_e32 v28, v49, v28                                // 000000003F9C: 02383931
	v_add_f32_e32 v4, v28, v4                                  // 000000003FA0: 0208091C
	v_cvt_pk_bf16_f32 v42, v42, v43                            // 000000003FA4: D268002A 0002572A
	v_cvt_pk_bf16_f32 v43, v44, v45                            // 000000003FAC: D268002B 00025B2C
	v_cvt_pk_bf16_f32 v44, v46, v47                            // 000000003FB4: D268002C 00025F2E
	v_cvt_pk_bf16_f32 v45, v48, v49                            // 000000003FBC: D268002D 00026330
	s_nop 0                                                    // 000000003FC4: BF800000
	v_permlane32_swap_b32_e32 v42, v44                         // 000000003FC8: 7E54B52C
	v_permlane32_swap_b32_e32 v43, v45                         // 000000003FCC: 7E56B52D
	s_nop 0                                                    // 000000003FD0: BF800000
	v_permlane16_swap_b32_e32 v42, v44                         // 000000003FD4: 7E54B32C
	v_permlane16_swap_b32_e32 v43, v45                         // 000000003FD8: 7E56B32D
	s_waitcnt lgkmcnt(0)                                       // 000000003FDC: BF8CC07F
	v_mfma_f32_16x16x32_bf16 v[38:41], a[72:75], a[0:3], 0     // 000000003FE0: D3B50026 1A020148
	v_mul_f32_e32 v50, v16, v50                                // 000000003FE8: 0A646510
	v_mul_f32_e32 v51, v16, v51                                // 000000003FEC: 0A666710
	ds_read_b64_tr_b16 a[144:145], v14                         // 000000003FF0: DBC60000 9000000E
	ds_read_b64_tr_b16 a[146:147], v14 offset:256              // 000000003FF8: DBC60100 9200000E
	v_mfma_f32_16x16x32_bf16 v[38:41], a[76:79], a[4:7], v[38:41]// 000000004000: D3B50026 1C9A094C
	buffer_load_dwordx4 v32, s[20:23], 0 offen offset:320 lds  // 000000004008: E05D1140 80050020
	s_add_i32 m0, m0, 0x3c0                                    // 000000004010: 817CFF7C 000003C0
	v_mul_f32_e32 v52, v16, v52                                // 000000004018: 0A686910
	v_mul_f32_e32 v53, v16, v53                                // 00000000401C: 0A6A6B10
	v_mfma_f32_16x16x32_bf16 v[38:41], a[80:83], a[8:11], v[38:41]// 000000004020: D3B50026 1C9A1150
	v_mul_f32_e32 v54, v16, v54                                // 000000004028: 0A6C6D10
	v_mul_f32_e32 v55, v16, v55                                // 00000000402C: 0A6E6F10
	ds_read_b64_tr_b16 a[148:149], v15                         // 000000004030: DBC60000 9400000F
	ds_read_b64_tr_b16 a[150:151], v15 offset:256              // 000000004038: DBC60100 9600000F
	v_mfma_f32_16x16x32_bf16 v[38:41], a[84:87], a[12:15], v[38:41]// 000000004040: D3B50026 1C9A1954
	v_mul_f32_e32 v56, v16, v56                                // 000000004048: 0A707110
	v_mul_f32_e32 v57, v16, v57                                // 00000000404C: 0A727310
	ds_read_b64_tr_b16 a[152:153], v14 offset:1024             // 000000004050: DBC60400 9800000E
	ds_read_b64_tr_b16 a[154:155], v14 offset:1280             // 000000004058: DBC60500 9A00000E
	v_mfma_f32_16x16x32_bf16 v[38:41], a[88:91], a[16:19], v[38:41]// 000000004060: D3B50026 1C9A2158
	v_mul_f32_e32 v58, v16, v58                                // 000000004068: 0A747510
	v_mul_f32_e32 v59, v16, v59                                // 00000000406C: 0A767710
	ds_read_b64_tr_b16 a[156:157], v15 offset:1024             // 000000004070: DBC60400 9C00000F
	ds_read_b64_tr_b16 a[158:159], v15 offset:1280             // 000000004078: DBC60500 9E00000F
	v_mfma_f32_16x16x32_bf16 v[38:41], a[92:95], a[20:23], v[38:41]// 000000004080: D3B50026 1C9A295C
	v_mul_f32_e32 v60, v16, v60                                // 000000004088: 0A787910
	v_mul_f32_e32 v61, v16, v61                                // 00000000408C: 0A7A7B10
	ds_read_b64_tr_b16 a[160:161], v14 offset:2048             // 000000004090: DBC60800 A000000E
	ds_read_b64_tr_b16 a[162:163], v14 offset:2304             // 000000004098: DBC60900 A200000E
	v_mfma_f32_16x16x32_bf16 v[38:41], a[96:99], a[24:27], v[38:41]// 0000000040A0: D3B50026 1C9A3160
	v_mul_f32_e32 v62, v16, v62                                // 0000000040A8: 0A7C7D10
	v_mul_f32_e32 v63, v16, v63                                // 0000000040AC: 0A7E7F10
	ds_read_b64_tr_b16 a[164:165], v15 offset:2048             // 0000000040B0: DBC60800 A400000F
	ds_read_b64_tr_b16 a[166:167], v15 offset:2304             // 0000000040B8: DBC60900 A600000F
	v_mfma_f32_16x16x32_bf16 v[38:41], a[100:103], a[28:31], v[38:41]// 0000000040C0: D3B50026 1C9A3964
	buffer_load_dwordx4 v32, s[20:23], 0 offen offset:384 lds  // 0000000040C8: E05D1180 80050020
	s_add_i32 m0, m0, 0x3c0                                    // 0000000040D0: 817CFF7C 000003C0
	v_mfma_f32_16x16x32_bf16 v[38:41], a[104:107], a[32:35], v[38:41]// 0000000040D8: D3B50026 1C9A4168
	v_mul_f32_e32 v64, v16, v64                                // 0000000040E0: 0A808110
	v_mul_f32_e32 v65, v16, v65                                // 0000000040E4: 0A828310
	ds_read_b64_tr_b16 a[168:169], v14 offset:3072             // 0000000040E8: DBC60C00 A800000E
	ds_read_b64_tr_b16 a[170:171], v14 offset:3328             // 0000000040F0: DBC60D00 AA00000E
	v_mfma_f32_16x16x32_bf16 v[38:41], a[108:111], a[36:39], v[38:41]// 0000000040F8: D3B50026 1C9A496C
	v_mul_f32_e32 v66, v16, v66                                // 000000004100: 0A848510
	v_mul_f32_e32 v67, v16, v67                                // 000000004104: 0A868710
	ds_read_b64_tr_b16 a[172:173], v15 offset:3072             // 000000004108: DBC60C00 AC00000F
	ds_read_b64_tr_b16 a[174:175], v15 offset:3328             // 000000004110: DBC60D00 AE00000F
	v_mfma_f32_16x16x32_bf16 v[38:41], a[112:115], a[40:43], v[38:41]// 000000004118: D3B50026 1C9A5170
	v_mul_f32_e32 v68, v16, v68                                // 000000004120: 0A888910
	v_mul_f32_e32 v69, v16, v69                                // 000000004124: 0A8A8B10
	ds_read_b64_tr_b16 a[176:177], v14 offset:4096             // 000000004128: DBC61000 B000000E
	ds_read_b64_tr_b16 a[178:179], v14 offset:4352             // 000000004130: DBC61100 B200000E
	v_mfma_f32_16x16x32_bf16 v[38:41], a[116:119], a[44:47], v[38:41]// 000000004138: D3B50026 1C9A5974
	buffer_load_dwordx4 v32, s[20:23], 0 offen offset:448 lds  // 000000004140: E05D11C0 80050020
	s_add_i32 m0, m0, 0x3c0                                    // 000000004148: 817CFF7C 000003C0
	v_mul_f32_e32 v70, v16, v70                                // 000000004150: 0A8C8D10
	v_mul_f32_e32 v71, v16, v71                                // 000000004154: 0A8E8F10
	v_mfma_f32_16x16x32_bf16 v[38:41], a[120:123], a[48:51], v[38:41]// 000000004158: D3B50026 1C9A6178
	v_mul_f32_e32 v72, v16, v72                                // 000000004160: 0A909110
	v_mul_f32_e32 v73, v16, v73                                // 000000004164: 0A929310
	ds_read_b64_tr_b16 a[180:181], v15 offset:4096             // 000000004168: DBC61000 B400000F
	ds_read_b64_tr_b16 a[182:183], v15 offset:4352             // 000000004170: DBC61100 B600000F
	v_mfma_f32_16x16x32_bf16 v[38:41], a[124:127], a[52:55], v[38:41]// 000000004178: D3B50026 1C9A697C
	v_mul_f32_e32 v74, v16, v74                                // 000000004180: 0A949510
	v_mul_f32_e32 v75, v16, v75                                // 000000004184: 0A969710
	ds_read_b64_tr_b16 a[184:185], v14 offset:5120             // 000000004188: DBC61400 B800000E
	ds_read_b64_tr_b16 a[186:187], v14 offset:5376             // 000000004190: DBC61500 BA00000E
	v_mfma_f32_16x16x32_bf16 v[38:41], a[128:131], a[56:59], v[38:41]// 000000004198: D3B50026 1C9A7180
	v_mul_f32_e32 v76, v16, v76                                // 0000000041A0: 0A989910
	v_mul_f32_e32 v77, v16, v77                                // 0000000041A4: 0A9A9B10
	ds_read_b64_tr_b16 a[188:189], v15 offset:5120             // 0000000041A8: DBC61400 BC00000F
	ds_read_b64_tr_b16 a[190:191], v15 offset:5376             // 0000000041B0: DBC61500 BE00000F
	v_mfma_f32_16x16x32_bf16 v[38:41], a[132:135], a[60:63], v[38:41]// 0000000041B8: D3B50026 1C9A7984
	buffer_load_dwordx4 v32, s[20:23], 0 offen offset:512 lds  // 0000000041C0: E05D1200 80050020
	s_add_i32 m0, m0, 0x3c0                                    // 0000000041C8: 817CFF7C 000003C0
	v_mfma_f32_16x16x32_bf16 v[38:41], a[136:139], a[64:67], v[38:41]// 0000000041D0: D3B50026 1C9A8188
	v_mul_f32_e32 v78, v16, v78                                // 0000000041D8: 0A9C9D10
	v_mul_f32_e32 v79, v16, v79                                // 0000000041DC: 0A9E9F10
	ds_read_b64_tr_b16 a[192:193], v14 offset:6144             // 0000000041E0: DBC61800 C000000E
	ds_read_b64_tr_b16 a[194:195], v14 offset:6400             // 0000000041E8: DBC61900 C200000E
	ds_read_b64_tr_b16 a[196:197], v15 offset:6144             // 0000000041F0: DBC61800 C400000F
	ds_read_b64_tr_b16 a[198:199], v15 offset:6400             // 0000000041F8: DBC61900 C600000F
	ds_read_b64_tr_b16 a[200:201], v14 offset:7168             // 000000004200: DBC61C00 C800000E
	ds_read_b64_tr_b16 a[202:203], v14 offset:7424             // 000000004208: DBC61D00 CA00000E
	ds_read_b64_tr_b16 a[204:205], v15 offset:7168             // 000000004210: DBC61C00 CC00000F
	ds_read_b64_tr_b16 a[206:207], v15 offset:7424             // 000000004218: DBC61D00 CE00000F
	v_mov_b32_e32 v30, v16                                     // 000000004220: 7E3C0310
	v_mov_b32_e32 v31, v16                                     // 000000004224: 7E3E0310
	v_pk_mul_f32 v[80:81], v[30:31], v[80:81]                  // 000000004228: D3B14050 1802A11E
	v_pk_mul_f32 v[82:83], v[30:31], v[82:83]                  // 000000004230: D3B14052 1802A51E
	v_pk_mul_f32 v[84:85], v[30:31], v[84:85]                  // 000000004238: D3B14054 1802A91E
	v_pk_mul_f32 v[86:87], v[30:31], v[86:87]                  // 000000004240: D3B14056 1802AD1E
	v_pk_mul_f32 v[88:89], v[30:31], v[88:89]                  // 000000004248: D3B14058 1802B11E
	v_pk_mul_f32 v[90:91], v[30:31], v[90:91]                  // 000000004250: D3B1405A 1802B51E
	v_pk_mul_f32 v[92:93], v[30:31], v[92:93]                  // 000000004258: D3B1405C 1802B91E
	v_pk_mul_f32 v[94:95], v[30:31], v[94:95]                  // 000000004260: D3B1405E 1802BD1E
	v_pk_mul_f32 v[96:97], v[30:31], v[96:97]                  // 000000004268: D3B14060 1802C11E
	v_pk_mul_f32 v[98:99], v[30:31], v[98:99]                  // 000000004270: D3B14062 1802C51E
	v_pk_mul_f32 v[100:101], v[30:31], v[100:101]              // 000000004278: D3B14064 1802C91E
	v_pk_mul_f32 v[102:103], v[30:31], v[102:103]              // 000000004280: D3B14066 1802CD1E
	v_pk_mul_f32 v[104:105], v[30:31], v[104:105]              // 000000004288: D3B14068 1802D11E
	v_pk_mul_f32 v[106:107], v[30:31], v[106:107]              // 000000004290: D3B1406A 1802D51E
	v_pk_mul_f32 v[108:109], v[30:31], v[108:109]              // 000000004298: D3B1406C 1802D91E
	v_pk_mul_f32 v[110:111], v[30:31], v[110:111]              // 0000000042A0: D3B1406E 1802DD1E
	v_pk_mul_f32 v[112:113], v[30:31], v[112:113]              // 0000000042A8: D3B14070 1802E11E
	v_pk_mul_f32 v[114:115], v[30:31], v[114:115]              // 0000000042B0: D3B14072 1802E51E
	v_pk_mul_f32 v[116:117], v[30:31], v[116:117]              // 0000000042B8: D3B14074 1802E91E
	v_pk_mul_f32 v[118:119], v[30:31], v[118:119]              // 0000000042C0: D3B14076 1802ED1E
	v_pk_mul_f32 v[120:121], v[30:31], v[120:121]              // 0000000042C8: D3B14078 1802F11E
	v_pk_mul_f32 v[122:123], v[30:31], v[122:123]              // 0000000042D0: D3B1407A 1802F51E
	v_pk_mul_f32 v[124:125], v[30:31], v[124:125]              // 0000000042D8: D3B1407C 1802F91E
	v_pk_mul_f32 v[126:127], v[30:31], v[126:127]              // 0000000042E0: D3B1407E 1802FD1E
	v_pk_mul_f32 v[128:129], v[30:31], v[128:129]              // 0000000042E8: D3B14080 1803011E
	v_pk_mul_f32 v[130:131], v[30:31], v[130:131]              // 0000000042F0: D3B14082 1803051E
	v_pk_mul_f32 v[132:133], v[30:31], v[132:133]              // 0000000042F8: D3B14084 1803091E
	v_pk_mul_f32 v[134:135], v[30:31], v[134:135]              // 000000004300: D3B14086 18030D1E
	v_pk_mul_f32 v[136:137], v[30:31], v[136:137]              // 000000004308: D3B14088 1803111E
	v_pk_mul_f32 v[138:139], v[30:31], v[138:139]              // 000000004310: D3B1408A 1803151E
	v_pk_mul_f32 v[140:141], v[30:31], v[140:141]              // 000000004318: D3B1408C 1803191E
	v_pk_mul_f32 v[142:143], v[30:31], v[142:143]              // 000000004320: D3B1408E 18031D1E
	v_pk_mul_f32 v[144:145], v[30:31], v[144:145]              // 000000004328: D3B14090 1803211E
	v_pk_mul_f32 v[146:147], v[30:31], v[146:147]              // 000000004330: D3B14092 1803251E
	v_pk_mul_f32 v[148:149], v[30:31], v[148:149]              // 000000004338: D3B14094 1803291E
	v_pk_mul_f32 v[150:151], v[30:31], v[150:151]              // 000000004340: D3B14096 18032D1E
	v_pk_mul_f32 v[152:153], v[30:31], v[152:153]              // 000000004348: D3B14098 1803311E
	v_pk_mul_f32 v[154:155], v[30:31], v[154:155]              // 000000004350: D3B1409A 1803351E
	v_pk_mul_f32 v[156:157], v[30:31], v[156:157]              // 000000004358: D3B1409C 1803391E
	v_pk_mul_f32 v[158:159], v[30:31], v[158:159]              // 000000004360: D3B1409E 18033D1E
	v_pk_mul_f32 v[160:161], v[30:31], v[160:161]              // 000000004368: D3B140A0 1803411E
	v_pk_mul_f32 v[162:163], v[30:31], v[162:163]              // 000000004370: D3B140A2 1803451E
	v_pk_mul_f32 v[164:165], v[30:31], v[164:165]              // 000000004378: D3B140A4 1803491E
	v_pk_mul_f32 v[166:167], v[30:31], v[166:167]              // 000000004380: D3B140A6 18034D1E
	v_pk_mul_f32 v[168:169], v[30:31], v[168:169]              // 000000004388: D3B140A8 1803511E
	v_pk_mul_f32 v[170:171], v[30:31], v[170:171]              // 000000004390: D3B140AA 1803551E
	v_pk_mul_f32 v[172:173], v[30:31], v[172:173]              // 000000004398: D3B140AC 1803591E
	v_pk_mul_f32 v[174:175], v[30:31], v[174:175]              // 0000000043A0: D3B140AE 18035D1E
	v_pk_mul_f32 v[176:177], v[30:31], v[176:177]              // 0000000043A8: D3B140B0 1803611E
	v_mfma_f32_16x16x32_bf16 v[38:41], a[140:143], a[68:71], v[38:41]// 0000000043B0: D3B50026 1C9A898C
	s_addk_i32 s70, 0x1                                        // 0000000043B8: B7460001
	s_cmp_lt_i32 s70, s71                                      // 0000000043BC: BF044746
	s_cbranch_scc0 label_3B18                                  // 0000000043C0: BF840715
	s_waitcnt lgkmcnt(0)                                       // 0000000043C4: BF8CC07F
	v_mul_u32_u24_e64 v32, v23, s68                            // 0000000043C8: D1080020 00008917
	v_add_u32_e32 v32, v32, v1                                 // 0000000043D0: 68400320
	v_mfma_f32_16x16x32_bf16 v[50:53], a[144:147], v[42:45], v[50:53]// 0000000043D4: D3B50032 0CCA5590
	v_mov_b32_e32 v29, v34                                     // 0000000043DC: 7E3A0322
	v_max3_f32 v29, v34, v35, v29                              // 0000000043E0: D1D3001D 04764722
	v_mfma_f32_16x16x32_bf16 v[54:57], a[148:151], v[42:45], v[54:57]// 0000000043E8: D3B50036 0CDA5594
	ds_read_b64_tr_b16 a[144:145], v14 offset:8192             // 0000000043F0: DBC62000 9000000E
	ds_read_b64_tr_b16 a[146:147], v14 offset:8448             // 0000000043F8: DBC62100 9200000E
	v_mfma_f32_16x16x32_bf16 v[58:61], a[152:155], v[42:45], v[58:61]// 000000004400: D3B5003A 0CEA5598
	v_max3_f32 v29, v36, v37, v29                              // 000000004408: D1D3001D 04764B24
	v_max3_f32 v29, v38, v39, v29                              // 000000004410: D1D3001D 04764F26
	v_mfma_f32_16x16x32_bf16 v[62:65], a[156:159], v[42:45], v[62:65]// 000000004418: D3B5003E 0CFA559C
	ds_read_b64_tr_b16 a[148:149], v15 offset:8192             // 000000004420: DBC62000 9400000F
	ds_read_b64_tr_b16 a[150:151], v15 offset:8448             // 000000004428: DBC62100 9600000F
	v_mfma_f32_16x16x32_bf16 v[66:69], a[160:163], v[42:45], v[66:69]// 000000004430: D3B50042 0D0A55A0
	v_max3_f32 v29, v40, v41, v29                              // 000000004438: D1D3001D 04765328
	v_mov_b32_e32 v28, v29                                     // 000000004440: 7E38031D
	v_mfma_f32_16x16x32_bf16 v[70:73], a[164:167], v[42:45], v[70:73]// 000000004444: D3B50046 0D1A55A4
	ds_read_b64_tr_b16 a[152:153], v14 offset:9216             // 00000000444C: DBC62400 9800000E
	ds_read_b64_tr_b16 a[154:155], v14 offset:9472             // 000000004454: DBC62500 9A00000E
	v_mfma_f32_16x16x32_bf16 v[74:77], a[168:171], v[42:45], v[74:77]// 00000000445C: D3B5004A 0D2A55A8
	v_mov_b32_e32 v29, v29                                     // 000000004464: 7E3A031D
	s_nop 1                                                    // 000000004468: BF800001
	v_mfma_f32_16x16x32_bf16 v[78:81], a[172:175], v[42:45], v[78:81]// 00000000446C: D3B5004E 0D3A55AC
	ds_read_b64_tr_b16 a[156:157], v15 offset:9216             // 000000004474: DBC62400 9C00000F
	ds_read_b64_tr_b16 a[158:159], v15 offset:9472             // 00000000447C: DBC62500 9E00000F
	v_mfma_f32_16x16x32_bf16 v[82:85], a[176:179], v[42:45], v[82:85]// 000000004484: D3B50052 0D4A55B0
	v_permlane16_swap_b32_e32 v28, v29                         // 00000000448C: 7E38B31D
	v_mfma_f32_16x16x32_bf16 v[86:89], a[180:183], v[42:45], v[86:89]// 000000004490: D3B50056 0D5A55B4
	ds_read_b64_tr_b16 a[160:161], v14 offset:10240            // 000000004498: DBC62800 A000000E
	ds_read_b64_tr_b16 a[162:163], v14 offset:10496            // 0000000044A0: DBC62900 A200000E
	v_mfma_f32_16x16x32_bf16 v[90:93], a[184:187], v[42:45], v[90:93]// 0000000044A8: D3B5005A 0D6A55B8
	v_mov_b32_e32 v31, v28                                     // 0000000044B0: 7E3E031C
	v_mov_b32_e32 v30, v29                                     // 0000000044B4: 7E3C031D
	v_mfma_f32_16x16x32_bf16 v[94:97], a[188:191], v[42:45], v[94:97]// 0000000044B8: D3B5005E 0D7A55BC
	ds_read_b64_tr_b16 a[164:165], v15 offset:10240            // 0000000044C0: DBC62800 A400000F
	ds_read_b64_tr_b16 a[166:167], v15 offset:10496            // 0000000044C8: DBC62900 A600000F
	v_mfma_f32_16x16x32_bf16 v[98:101], a[192:195], v[42:45], v[98:101]// 0000000044D0: D3B50062 0D8A55C0
	s_nop 1                                                    // 0000000044D8: BF800001
	v_permlane32_swap_b32_e32 v28, v29                         // 0000000044DC: 7E38B51D
	v_mfma_f32_16x16x32_bf16 v[102:105], a[196:199], v[42:45], v[102:105]// 0000000044E0: D3B50066 0D9A55C4
	ds_read_b64_tr_b16 a[168:169], v14 offset:11264            // 0000000044E8: DBC62C00 A800000E
	ds_read_b64_tr_b16 a[170:171], v14 offset:11520            // 0000000044F0: DBC62D00 AA00000E
	v_mfma_f32_16x16x32_bf16 v[106:109], a[200:203], v[42:45], v[106:109]// 0000000044F8: D3B5006A 0DAA55C8
	v_permlane32_swap_b32_e32 v30, v31                         // 000000004500: 7E3CB51F
	v_mfma_f32_16x16x32_bf16 v[110:113], a[204:207], v[42:45], v[110:113]// 000000004504: D3B5006E 0DBA55CC
	ds_read_b64_tr_b16 a[172:173], v15 offset:11264            // 00000000450C: DBC62C00 AC00000F
	ds_read_b64_tr_b16 a[174:175], v15 offset:11520            // 000000004514: DBC62D00 AE00000F
	ds_read_b64_tr_b16 a[176:177], v14 offset:12288            // 00000000451C: DBC63000 B000000E
	ds_read_b64_tr_b16 a[178:179], v14 offset:12544            // 000000004524: DBC63100 B200000E
	ds_read_b64_tr_b16 a[180:181], v15 offset:12288            // 00000000452C: DBC63000 B400000F
	ds_read_b64_tr_b16 a[182:183], v15 offset:12544            // 000000004534: DBC63100 B600000F
	ds_read_b64_tr_b16 a[184:185], v14 offset:13312            // 00000000453C: DBC63400 B800000E
	ds_read_b64_tr_b16 a[186:187], v14 offset:13568            // 000000004544: DBC63500 BA00000E
	ds_read_b64_tr_b16 a[188:189], v15 offset:13312            // 00000000454C: DBC63400 BC00000F
	ds_read_b64_tr_b16 a[190:191], v15 offset:13568            // 000000004554: DBC63500 BE00000F
	s_waitcnt lgkmcnt(0)                                       // 00000000455C: BF8CC07F
	v_mfma_f32_16x16x32_bf16 v[114:117], a[144:147], v[42:45], v[114:117]// 000000004560: D3B50072 0DCA5590
	ds_read_b64_tr_b16 a[192:193], v14 offset:14336            // 000000004568: DBC63800 C000000E
	ds_read_b64_tr_b16 a[194:195], v14 offset:14592            // 000000004570: DBC63900 C200000E
	v_mfma_f32_16x16x32_bf16 v[118:121], a[148:151], v[42:45], v[118:121]// 000000004578: D3B50076 0DDA5594
	s_waitcnt vmcnt(10)                                        // 000000004580: BF8C0F7A
	s_barrier                                                  // 000000004584: BF8A0000
	ds_read_b128 a[72:75], v19                                 // 000000004588: DBFE0000 48000013
	ds_read_b128 a[76:79], v19 offset:1024                     // 000000004590: DBFE0400 4C000013
	v_mfma_f32_16x16x32_bf16 v[122:125], a[152:155], v[42:45], v[122:125]// 000000004598: D3B5007A 0DEA5598
	ds_read_b64_tr_b16 a[196:197], v15 offset:14336            // 0000000045A0: DBC63800 C400000F
	ds_read_b64_tr_b16 a[198:199], v15 offset:14592            // 0000000045A8: DBC63900 C600000F
	v_mfma_f32_16x16x32_bf16 v[126:129], a[156:159], v[42:45], v[126:129]// 0000000045B0: D3B5007E 0DFA559C
	ds_read_b128 a[80:83], v19 offset:2048                     // 0000000045B8: DBFE0800 50000013
	ds_read_b128 a[84:87], v19 offset:3072                     // 0000000045C0: DBFE0C00 54000013
	v_mfma_f32_16x16x32_bf16 v[130:133], a[160:163], v[42:45], v[130:133]// 0000000045C8: D3B50082 0E0A55A0
	ds_read_b64_tr_b16 a[200:201], v14 offset:15360            // 0000000045D0: DBC63C00 C800000E
	ds_read_b64_tr_b16 a[202:203], v14 offset:15616            // 0000000045D8: DBC63D00 CA00000E
	v_mfma_f32_16x16x32_bf16 v[134:137], a[164:167], v[42:45], v[134:137]// 0000000045E0: D3B50086 0E1A55A4
	ds_read_b128 a[88:91], v19 offset:4096                     // 0000000045E8: DBFE1000 58000013
	ds_read_b128 a[92:95], v19 offset:5120                     // 0000000045F0: DBFE1400 5C000013
	v_mfma_f32_16x16x32_bf16 v[138:141], a[168:171], v[42:45], v[138:141]// 0000000045F8: D3B5008A 0E2A55A8
	ds_read_b64_tr_b16 a[204:205], v15 offset:15360            // 000000004600: DBC63C00 CC00000F
	ds_read_b64_tr_b16 a[206:207], v15 offset:15616            // 000000004608: DBC63D00 CE00000F
	v_mfma_f32_16x16x32_bf16 v[142:145], a[172:175], v[42:45], v[142:145]// 000000004610: D3B5008E 0E3A55AC
	ds_read_b128 a[96:99], v19 offset:6144                     // 000000004618: DBFE1800 60000013
	ds_read_b128 a[100:103], v19 offset:7168                   // 000000004620: DBFE1C00 64000013
	v_mfma_f32_16x16x32_bf16 v[146:149], a[176:179], v[42:45], v[146:149]// 000000004628: D3B50092 0E4A55B0
	v_max3_f32 v29, v28, v29, v29                              // 000000004630: D1D3001D 04763B1C
	v_max3_f32 v29, v30, v31, v29                              // 000000004638: D1D3001D 04763F1E
	v_mfma_f32_16x16x32_bf16 v[150:153], a[180:183], v[42:45], v[150:153]// 000000004640: D3B50096 0E5A55B4
	ds_read_b128 a[104:107], v19 offset:8192                   // 000000004648: DBFE2000 68000013
	ds_read_b128 a[108:111], v19 offset:9216                   // 000000004650: DBFE2400 6C000013
	v_mfma_f32_16x16x32_bf16 v[154:157], a[184:187], v[42:45], v[154:157]// 000000004658: D3B5009A 0E6A55B8
	v_mov_b32_e32 v28, 0xff800000                              // 000000004660: 7E3802FF FF800000
	v_cmp_eq_u32_e64 s[36:37], v28, v2                         // 000000004668: D0CA0024 0002051C
	v_mfma_f32_16x16x32_bf16 v[158:161], a[188:191], v[42:45], v[158:161]// 000000004670: D3B5009E 0E7A55BC
	ds_read_b128 a[112:115], v19 offset:10240                  // 000000004678: DBFE2800 70000013
	ds_read_b128 a[116:119], v19 offset:11264                  // 000000004680: DBFE2C00 74000013
	v_mfma_f32_16x16x32_bf16 v[162:165], a[192:195], v[42:45], v[162:165]// 000000004688: D3B500A2 0E8A55C0
	v_max_f32_e32 v29, v29, v2                                 // 000000004690: 163A051D
	v_sub_f32_e32 v16, v2, v29                                 // 000000004694: 04203B02
	v_mfma_f32_16x16x32_bf16 v[166:169], a[196:199], v[42:45], v[166:169]// 000000004698: D3B500A6 0E9A55C4
	ds_read_b128 a[120:123], v19 offset:12288                  // 0000000046A0: DBFE3000 78000013
	ds_read_b128 a[124:127], v19 offset:13312                  // 0000000046A8: DBFE3400 7C000013
	v_mfma_f32_16x16x32_bf16 v[170:173], a[200:203], v[42:45], v[170:173]// 0000000046B0: D3B500AA 0EAA55C8
	v_cndmask_b32_e64 v16, v16, 0, s[36:37]                    // 0000000046B8: D1000010 00910110
	v_mov_b32_e32 v2, v29                                      // 0000000046C0: 7E04031D
	v_mfma_f32_16x16x32_bf16 v[174:177], a[204:207], v[42:45], v[174:177]// 0000000046C4: D3B500AE 0EBA55CC
	ds_read_b128 a[128:131], v19 offset:14336                  // 0000000046CC: DBFE3800 80000013
	ds_read_b128 a[132:135], v19 offset:15360                  // 0000000046D4: DBFE3C00 84000013
	ds_read_b128 a[136:139], v19 offset:16384                  // 0000000046DC: DBFE4000 88000013
	ds_read_b128 a[140:143], v19 offset:17408                  // 0000000046E4: DBFE4400 8C000013
	s_waitcnt lgkmcnt(0)                                       // 0000000046EC: BF8CC07F
	v_mfma_f32_16x16x32_bf16 v[42:45], a[72:75], a[0:3], 0     // 0000000046F0: D3B5002A 1A020148
	buffer_load_dword v25, v26, s[24:27], 0 offen              // 0000000046F8: E0501000 8006191A
	v_mul_f32_e32 v29, s5, v29                                 // 000000004700: 0A3A3A05
	s_mov_b32 s56, 0x1d000                                     // 000000004704: BEB800FF 0001D000
	s_mul_i32 s57, s7, 0x2400                                  // 00000000470C: 9239FF07 00002400
	s_add_u32 m0, s56, s57                                     // 000000004714: 807C3938
	buffer_load_dwordx4 v32, s[20:23], 0 offen lds             // 000000004718: E05D1000 80050020
	s_add_i32 m0, m0, 0x3c0                                    // 000000004720: 817CFF7C 000003C0
	v_mfma_f32_16x16x32_bf16 v[42:45], a[76:79], a[4:7], v[42:45]// 000000004728: D3B5002A 1CAA094C
	buffer_load_dwordx4 v32, s[20:23], 0 offen offset:64 lds   // 000000004730: E05D1040 80050020
	s_add_i32 m0, m0, 0x3c0                                    // 000000004738: 817CFF7C 000003C0
	v_mfma_f32_16x16x32_bf16 v[42:45], a[80:83], a[8:11], v[42:45]// 000000004740: D3B5002A 1CAA1150
	v_mul_f32_e32 v16, s5, v16                                 // 000000004748: 0A202005
	v_exp_f32_e32 v16, v16                                     // 00000000474C: 7E204110
	v_mfma_f32_16x16x32_bf16 v[42:45], a[84:87], a[12:15], v[42:45]// 000000004750: D3B5002A 1CAA1954
	v_add_u32_e32 v26, s73, v26                                // 000000004758: 68343449
	ds_read_b128 a[72:75], v19 offset:18432                    // 00000000475C: DBFE4800 48000013
	ds_read_b128 a[76:79], v19 offset:19456                    // 000000004764: DBFE4C00 4C000013
	v_fma_f32 v34, v34, s5, -v29                               // 00000000476C: D1CB0022 84740B22
	v_mfma_f32_16x16x32_bf16 v[42:45], a[88:91], a[16:19], v[42:45]// 000000004774: D3B5002A 1CAA2158
	ds_read_b128 a[80:83], v19 offset:20480                    // 00000000477C: DBFE5000 50000013
	ds_read_b128 a[84:87], v19 offset:21504                    // 000000004784: DBFE5400 54000013
	v_fma_f32 v35, v35, s5, -v29                               // 00000000478C: D1CB0023 84740B23
	v_mfma_f32_16x16x32_bf16 v[42:45], a[92:95], a[20:23], v[42:45]// 000000004794: D3B5002A 1CAA295C
	buffer_load_dwordx4 v32, s[20:23], 0 offen offset:128 lds  // 00000000479C: E05D1080 80050020
	s_add_i32 m0, m0, 0x3c0                                    // 0000000047A4: 817CFF7C 000003C0
	v_mfma_f32_16x16x32_bf16 v[42:45], a[96:99], a[24:27], v[42:45]// 0000000047AC: D3B5002A 1CAA3160
	v_fma_f32 v36, v36, s5, -v29                               // 0000000047B4: D1CB0024 84740B24
	v_fma_f32 v37, v37, s5, -v29                               // 0000000047BC: D1CB0025 84740B25
	v_mfma_f32_16x16x32_bf16 v[42:45], a[100:103], a[28:31], v[42:45]// 0000000047C4: D3B5002A 1CAA3964
	ds_read_b128 a[88:91], v19 offset:22528                    // 0000000047CC: DBFE5800 58000013
	ds_read_b128 a[92:95], v19 offset:23552                    // 0000000047D4: DBFE5C00 5C000013
	v_fma_f32 v38, v38, s5, -v29                               // 0000000047DC: D1CB0026 84740B26
	v_mfma_f32_16x16x32_bf16 v[42:45], a[104:107], a[32:35], v[42:45]// 0000000047E4: D3B5002A 1CAA4168
	ds_read_b128 a[96:99], v19 offset:24576                    // 0000000047EC: DBFE6000 60000013
	ds_read_b128 a[100:103], v19 offset:25600                  // 0000000047F4: DBFE6400 64000013
	v_fma_f32 v39, v39, s5, -v29                               // 0000000047FC: D1CB0027 84740B27
	v_mfma_f32_16x16x32_bf16 v[42:45], a[108:111], a[36:39], v[42:45]// 000000004804: D3B5002A 1CAA496C
	buffer_load_dwordx4 v32, s[20:23], 0 offen offset:192 lds  // 00000000480C: E05D10C0 80050020
	s_add_i32 m0, m0, 0x3c0                                    // 000000004814: 817CFF7C 000003C0
	v_mfma_f32_16x16x32_bf16 v[42:45], a[112:115], a[40:43], v[42:45]// 00000000481C: D3B5002A 1CAA5170
	v_fma_f32 v40, v40, s5, -v29                               // 000000004824: D1CB0028 84740B28
	v_fma_f32 v41, v41, s5, -v29                               // 00000000482C: D1CB0029 84740B29
	v_mfma_f32_16x16x32_bf16 v[42:45], a[116:119], a[44:47], v[42:45]// 000000004834: D3B5002A 1CAA5974
	v_exp_f32_e32 v34, v34                                     // 00000000483C: 7E444122
	v_mfma_f32_16x16x32_bf16 v[42:45], a[120:123], a[48:51], v[42:45]// 000000004840: D3B5002A 1CAA6178
	ds_read_b128 a[104:107], v19 offset:26624                  // 000000004848: DBFE6800 68000013
	ds_read_b128 a[108:111], v19 offset:27648                  // 000000004850: DBFE6C00 6C000013
	v_exp_f32_e32 v35, v35                                     // 000000004858: 7E464123
	v_mfma_f32_16x16x32_bf16 v[42:45], a[124:127], a[52:55], v[42:45]// 00000000485C: D3B5002A 1CAA697C
	buffer_load_dwordx4 v32, s[20:23], 0 offen offset:256 lds  // 000000004864: E05D1100 80050020
	s_add_i32 m0, m0, 0x3c0                                    // 00000000486C: 817CFF7C 000003C0
	v_mfma_f32_16x16x32_bf16 v[42:45], a[128:131], a[56:59], v[42:45]// 000000004874: D3B5002A 1CAA7180
	v_exp_f32_e32 v36, v36                                     // 00000000487C: 7E484124
	v_mfma_f32_16x16x32_bf16 v[42:45], a[132:135], a[60:63], v[42:45]// 000000004880: D3B5002A 1CAA7984
	ds_read_b128 a[112:115], v19 offset:28672                  // 000000004888: DBFE7000 70000013
	ds_read_b128 a[116:119], v19 offset:29696                  // 000000004890: DBFE7400 74000013
	v_exp_f32_e32 v37, v37                                     // 000000004898: 7E4A4125
	v_mfma_f32_16x16x32_bf16 v[42:45], a[136:139], a[64:67], v[42:45]// 00000000489C: D3B5002A 1CAA8188
	ds_read_b128 a[120:123], v19 offset:30720                  // 0000000048A4: DBFE7800 78000013
	ds_read_b128 a[124:127], v19 offset:31744                  // 0000000048AC: DBFE7C00 7C000013
	v_exp_f32_e32 v38, v38                                     // 0000000048B4: 7E4C4126
	v_mfma_f32_16x16x32_bf16 v[42:45], a[140:143], a[68:71], v[42:45]// 0000000048B8: D3B5002A 1CAA898C
	ds_read_b128 a[128:131], v19 offset:32768                  // 0000000048C0: DBFE8000 80000013
	ds_read_b128 a[132:135], v19 offset:33792                  // 0000000048C8: DBFE8400 84000013
	v_exp_f32_e32 v39, v39                                     // 0000000048D0: 7E4E4127
	ds_read_b128 a[136:139], v19 offset:34816                  // 0000000048D4: DBFE8800 88000013
	ds_read_b128 a[140:143], v19 offset:35840                  // 0000000048DC: DBFE8C00 8C000013
	v_exp_f32_e32 v40, v40                                     // 0000000048E4: 7E504128
	v_exp_f32_e32 v41, v41                                     // 0000000048E8: 7E524129
	v_mul_f32_e32 v4, v16, v4                                  // 0000000048EC: 0A080910
	v_mov_b32_e32 v28, v34                                     // 0000000048F0: 7E380322
	v_add_f32_e32 v28, v35, v28                                // 0000000048F4: 02383923
	v_add_f32_e32 v28, v36, v28                                // 0000000048F8: 02383924
	v_add_f32_e32 v28, v37, v28                                // 0000000048FC: 02383925
	v_add_f32_e32 v28, v38, v28                                // 000000004900: 02383926
	v_add_f32_e32 v28, v39, v28                                // 000000004904: 02383927
	;; [unrolled: 1-line block ×3, first 2 shown]
	v_add_f32_e32 v28, v41, v28                                // 00000000490C: 02383929
	v_add_f32_e32 v4, v28, v4                                  // 000000004910: 0208091C
	v_cvt_pk_bf16_f32 v34, v34, v35                            // 000000004914: D2680022 00024722
	v_cvt_pk_bf16_f32 v35, v36, v37                            // 00000000491C: D2680023 00024B24
	v_cvt_pk_bf16_f32 v36, v38, v39                            // 000000004924: D2680024 00024F26
	v_cvt_pk_bf16_f32 v37, v40, v41                            // 00000000492C: D2680025 00025328
	s_nop 0                                                    // 000000004934: BF800000
	v_permlane32_swap_b32_e32 v34, v36                         // 000000004938: 7E44B524
	v_permlane32_swap_b32_e32 v35, v37                         // 00000000493C: 7E46B525
	s_nop 0                                                    // 000000004940: BF800000
	v_permlane16_swap_b32_e32 v34, v36                         // 000000004944: 7E44B324
	v_permlane16_swap_b32_e32 v35, v37                         // 000000004948: 7E46B325
	s_waitcnt lgkmcnt(0)                                       // 00000000494C: BF8CC07F
	v_mfma_f32_16x16x32_bf16 v[46:49], a[72:75], a[0:3], 0     // 000000004950: D3B5002E 1A020148
	v_mul_f32_e32 v50, v16, v50                                // 000000004958: 0A646510
	v_mul_f32_e32 v51, v16, v51                                // 00000000495C: 0A666710
	ds_read_b64_tr_b16 a[144:145], v8                          // 000000004960: DBC60000 90000008
	ds_read_b64_tr_b16 a[146:147], v8 offset:256               // 000000004968: DBC60100 92000008
	v_mfma_f32_16x16x32_bf16 v[46:49], a[76:79], a[4:7], v[46:49]// 000000004970: D3B5002E 1CBA094C
	buffer_load_dwordx4 v32, s[20:23], 0 offen offset:320 lds  // 000000004978: E05D1140 80050020
	s_add_i32 m0, m0, 0x3c0                                    // 000000004980: 817CFF7C 000003C0
	v_mul_f32_e32 v52, v16, v52                                // 000000004988: 0A686910
	v_mul_f32_e32 v53, v16, v53                                // 00000000498C: 0A6A6B10
	v_mfma_f32_16x16x32_bf16 v[46:49], a[80:83], a[8:11], v[46:49]// 000000004990: D3B5002E 1CBA1150
	v_mul_f32_e32 v54, v16, v54                                // 000000004998: 0A6C6D10
	v_mul_f32_e32 v55, v16, v55                                // 00000000499C: 0A6E6F10
	ds_read_b64_tr_b16 a[148:149], v9                          // 0000000049A0: DBC60000 94000009
	ds_read_b64_tr_b16 a[150:151], v9 offset:256               // 0000000049A8: DBC60100 96000009
	v_mfma_f32_16x16x32_bf16 v[46:49], a[84:87], a[12:15], v[46:49]// 0000000049B0: D3B5002E 1CBA1954
	v_mul_f32_e32 v56, v16, v56                                // 0000000049B8: 0A707110
	v_mul_f32_e32 v57, v16, v57                                // 0000000049BC: 0A727310
	ds_read_b64_tr_b16 a[152:153], v8 offset:1024              // 0000000049C0: DBC60400 98000008
	ds_read_b64_tr_b16 a[154:155], v8 offset:1280              // 0000000049C8: DBC60500 9A000008
	v_mfma_f32_16x16x32_bf16 v[46:49], a[88:91], a[16:19], v[46:49]// 0000000049D0: D3B5002E 1CBA2158
	v_mul_f32_e32 v58, v16, v58                                // 0000000049D8: 0A747510
	v_mul_f32_e32 v59, v16, v59                                // 0000000049DC: 0A767710
	ds_read_b64_tr_b16 a[156:157], v9 offset:1024              // 0000000049E0: DBC60400 9C000009
	ds_read_b64_tr_b16 a[158:159], v9 offset:1280              // 0000000049E8: DBC60500 9E000009
	v_mfma_f32_16x16x32_bf16 v[46:49], a[92:95], a[20:23], v[46:49]// 0000000049F0: D3B5002E 1CBA295C
	v_mul_f32_e32 v60, v16, v60                                // 0000000049F8: 0A787910
	v_mul_f32_e32 v61, v16, v61                                // 0000000049FC: 0A7A7B10
	ds_read_b64_tr_b16 a[160:161], v8 offset:2048              // 000000004A00: DBC60800 A0000008
	ds_read_b64_tr_b16 a[162:163], v8 offset:2304              // 000000004A08: DBC60900 A2000008
	v_mfma_f32_16x16x32_bf16 v[46:49], a[96:99], a[24:27], v[46:49]// 000000004A10: D3B5002E 1CBA3160
	v_mul_f32_e32 v62, v16, v62                                // 000000004A18: 0A7C7D10
	v_mul_f32_e32 v63, v16, v63                                // 000000004A1C: 0A7E7F10
	ds_read_b64_tr_b16 a[164:165], v9 offset:2048              // 000000004A20: DBC60800 A4000009
	ds_read_b64_tr_b16 a[166:167], v9 offset:2304              // 000000004A28: DBC60900 A6000009
	v_mfma_f32_16x16x32_bf16 v[46:49], a[100:103], a[28:31], v[46:49]// 000000004A30: D3B5002E 1CBA3964
	buffer_load_dwordx4 v32, s[20:23], 0 offen offset:384 lds  // 000000004A38: E05D1180 80050020
	s_add_i32 m0, m0, 0x3c0                                    // 000000004A40: 817CFF7C 000003C0
	v_mfma_f32_16x16x32_bf16 v[46:49], a[104:107], a[32:35], v[46:49]// 000000004A48: D3B5002E 1CBA4168
	v_mul_f32_e32 v64, v16, v64                                // 000000004A50: 0A808110
	v_mul_f32_e32 v65, v16, v65                                // 000000004A54: 0A828310
	ds_read_b64_tr_b16 a[168:169], v8 offset:3072              // 000000004A58: DBC60C00 A8000008
	ds_read_b64_tr_b16 a[170:171], v8 offset:3328              // 000000004A60: DBC60D00 AA000008
	v_mfma_f32_16x16x32_bf16 v[46:49], a[108:111], a[36:39], v[46:49]// 000000004A68: D3B5002E 1CBA496C
	v_mul_f32_e32 v66, v16, v66                                // 000000004A70: 0A848510
	v_mul_f32_e32 v67, v16, v67                                // 000000004A74: 0A868710
	ds_read_b64_tr_b16 a[172:173], v9 offset:3072              // 000000004A78: DBC60C00 AC000009
	ds_read_b64_tr_b16 a[174:175], v9 offset:3328              // 000000004A80: DBC60D00 AE000009
	v_mfma_f32_16x16x32_bf16 v[46:49], a[112:115], a[40:43], v[46:49]// 000000004A88: D3B5002E 1CBA5170
	v_mul_f32_e32 v68, v16, v68                                // 000000004A90: 0A888910
	v_mul_f32_e32 v69, v16, v69                                // 000000004A94: 0A8A8B10
	ds_read_b64_tr_b16 a[176:177], v8 offset:4096              // 000000004A98: DBC61000 B0000008
	ds_read_b64_tr_b16 a[178:179], v8 offset:4352              // 000000004AA0: DBC61100 B2000008
	v_mfma_f32_16x16x32_bf16 v[46:49], a[116:119], a[44:47], v[46:49]// 000000004AA8: D3B5002E 1CBA5974
	buffer_load_dwordx4 v32, s[20:23], 0 offen offset:448 lds  // 000000004AB0: E05D11C0 80050020
	s_add_i32 m0, m0, 0x3c0                                    // 000000004AB8: 817CFF7C 000003C0
	v_mul_f32_e32 v70, v16, v70                                // 000000004AC0: 0A8C8D10
	v_mul_f32_e32 v71, v16, v71                                // 000000004AC4: 0A8E8F10
	v_mfma_f32_16x16x32_bf16 v[46:49], a[120:123], a[48:51], v[46:49]// 000000004AC8: D3B5002E 1CBA6178
	v_mul_f32_e32 v72, v16, v72                                // 000000004AD0: 0A909110
	v_mul_f32_e32 v73, v16, v73                                // 000000004AD4: 0A929310
	ds_read_b64_tr_b16 a[180:181], v9 offset:4096              // 000000004AD8: DBC61000 B4000009
	ds_read_b64_tr_b16 a[182:183], v9 offset:4352              // 000000004AE0: DBC61100 B6000009
	v_mfma_f32_16x16x32_bf16 v[46:49], a[124:127], a[52:55], v[46:49]// 000000004AE8: D3B5002E 1CBA697C
	v_mul_f32_e32 v74, v16, v74                                // 000000004AF0: 0A949510
	v_mul_f32_e32 v75, v16, v75                                // 000000004AF4: 0A969710
	ds_read_b64_tr_b16 a[184:185], v8 offset:5120              // 000000004AF8: DBC61400 B8000008
	ds_read_b64_tr_b16 a[186:187], v8 offset:5376              // 000000004B00: DBC61500 BA000008
	v_mfma_f32_16x16x32_bf16 v[46:49], a[128:131], a[56:59], v[46:49]// 000000004B08: D3B5002E 1CBA7180
	v_mul_f32_e32 v76, v16, v76                                // 000000004B10: 0A989910
	v_mul_f32_e32 v77, v16, v77                                // 000000004B14: 0A9A9B10
	ds_read_b64_tr_b16 a[188:189], v9 offset:5120              // 000000004B18: DBC61400 BC000009
	ds_read_b64_tr_b16 a[190:191], v9 offset:5376              // 000000004B20: DBC61500 BE000009
	v_mfma_f32_16x16x32_bf16 v[46:49], a[132:135], a[60:63], v[46:49]// 000000004B28: D3B5002E 1CBA7984
	buffer_load_dwordx4 v32, s[20:23], 0 offen offset:512 lds  // 000000004B30: E05D1200 80050020
	s_add_i32 m0, m0, 0x3c0                                    // 000000004B38: 817CFF7C 000003C0
	v_mfma_f32_16x16x32_bf16 v[46:49], a[136:139], a[64:67], v[46:49]// 000000004B40: D3B5002E 1CBA8188
	v_mul_f32_e32 v78, v16, v78                                // 000000004B48: 0A9C9D10
	v_mul_f32_e32 v79, v16, v79                                // 000000004B4C: 0A9E9F10
	ds_read_b64_tr_b16 a[192:193], v8 offset:6144              // 000000004B50: DBC61800 C0000008
	ds_read_b64_tr_b16 a[194:195], v8 offset:6400              // 000000004B58: DBC61900 C2000008
	ds_read_b64_tr_b16 a[196:197], v9 offset:6144              // 000000004B60: DBC61800 C4000009
	ds_read_b64_tr_b16 a[198:199], v9 offset:6400              // 000000004B68: DBC61900 C6000009
	ds_read_b64_tr_b16 a[200:201], v8 offset:7168              // 000000004B70: DBC61C00 C8000008
	ds_read_b64_tr_b16 a[202:203], v8 offset:7424              // 000000004B78: DBC61D00 CA000008
	ds_read_b64_tr_b16 a[204:205], v9 offset:7168              // 000000004B80: DBC61C00 CC000009
	ds_read_b64_tr_b16 a[206:207], v9 offset:7424              // 000000004B88: DBC61D00 CE000009
	v_mov_b32_e32 v30, v16                                     // 000000004B90: 7E3C0310
	v_mov_b32_e32 v31, v16                                     // 000000004B94: 7E3E0310
	v_pk_mul_f32 v[80:81], v[30:31], v[80:81]                  // 000000004B98: D3B14050 1802A11E
	v_pk_mul_f32 v[82:83], v[30:31], v[82:83]                  // 000000004BA0: D3B14052 1802A51E
	v_pk_mul_f32 v[84:85], v[30:31], v[84:85]                  // 000000004BA8: D3B14054 1802A91E
	v_pk_mul_f32 v[86:87], v[30:31], v[86:87]                  // 000000004BB0: D3B14056 1802AD1E
	v_pk_mul_f32 v[88:89], v[30:31], v[88:89]                  // 000000004BB8: D3B14058 1802B11E
	v_pk_mul_f32 v[90:91], v[30:31], v[90:91]                  // 000000004BC0: D3B1405A 1802B51E
	v_pk_mul_f32 v[92:93], v[30:31], v[92:93]                  // 000000004BC8: D3B1405C 1802B91E
	v_pk_mul_f32 v[94:95], v[30:31], v[94:95]                  // 000000004BD0: D3B1405E 1802BD1E
	v_pk_mul_f32 v[96:97], v[30:31], v[96:97]                  // 000000004BD8: D3B14060 1802C11E
	v_pk_mul_f32 v[98:99], v[30:31], v[98:99]                  // 000000004BE0: D3B14062 1802C51E
	v_pk_mul_f32 v[100:101], v[30:31], v[100:101]              // 000000004BE8: D3B14064 1802C91E
	v_pk_mul_f32 v[102:103], v[30:31], v[102:103]              // 000000004BF0: D3B14066 1802CD1E
	v_pk_mul_f32 v[104:105], v[30:31], v[104:105]              // 000000004BF8: D3B14068 1802D11E
	v_pk_mul_f32 v[106:107], v[30:31], v[106:107]              // 000000004C00: D3B1406A 1802D51E
	v_pk_mul_f32 v[108:109], v[30:31], v[108:109]              // 000000004C08: D3B1406C 1802D91E
	v_pk_mul_f32 v[110:111], v[30:31], v[110:111]              // 000000004C10: D3B1406E 1802DD1E
	v_pk_mul_f32 v[112:113], v[30:31], v[112:113]              // 000000004C18: D3B14070 1802E11E
	v_pk_mul_f32 v[114:115], v[30:31], v[114:115]              // 000000004C20: D3B14072 1802E51E
	v_pk_mul_f32 v[116:117], v[30:31], v[116:117]              // 000000004C28: D3B14074 1802E91E
	v_pk_mul_f32 v[118:119], v[30:31], v[118:119]              // 000000004C30: D3B14076 1802ED1E
	v_pk_mul_f32 v[120:121], v[30:31], v[120:121]              // 000000004C38: D3B14078 1802F11E
	v_pk_mul_f32 v[122:123], v[30:31], v[122:123]              // 000000004C40: D3B1407A 1802F51E
	v_pk_mul_f32 v[124:125], v[30:31], v[124:125]              // 000000004C48: D3B1407C 1802F91E
	v_pk_mul_f32 v[126:127], v[30:31], v[126:127]              // 000000004C50: D3B1407E 1802FD1E
	v_pk_mul_f32 v[128:129], v[30:31], v[128:129]              // 000000004C58: D3B14080 1803011E
	v_pk_mul_f32 v[130:131], v[30:31], v[130:131]              // 000000004C60: D3B14082 1803051E
	v_pk_mul_f32 v[132:133], v[30:31], v[132:133]              // 000000004C68: D3B14084 1803091E
	v_pk_mul_f32 v[134:135], v[30:31], v[134:135]              // 000000004C70: D3B14086 18030D1E
	v_pk_mul_f32 v[136:137], v[30:31], v[136:137]              // 000000004C78: D3B14088 1803111E
	v_pk_mul_f32 v[138:139], v[30:31], v[138:139]              // 000000004C80: D3B1408A 1803151E
	v_pk_mul_f32 v[140:141], v[30:31], v[140:141]              // 000000004C88: D3B1408C 1803191E
	v_pk_mul_f32 v[142:143], v[30:31], v[142:143]              // 000000004C90: D3B1408E 18031D1E
	v_pk_mul_f32 v[144:145], v[30:31], v[144:145]              // 000000004C98: D3B14090 1803211E
	v_pk_mul_f32 v[146:147], v[30:31], v[146:147]              // 000000004CA0: D3B14092 1803251E
	v_pk_mul_f32 v[148:149], v[30:31], v[148:149]              // 000000004CA8: D3B14094 1803291E
	v_pk_mul_f32 v[150:151], v[30:31], v[150:151]              // 000000004CB0: D3B14096 18032D1E
	v_pk_mul_f32 v[152:153], v[30:31], v[152:153]              // 000000004CB8: D3B14098 1803311E
	v_pk_mul_f32 v[154:155], v[30:31], v[154:155]              // 000000004CC0: D3B1409A 1803351E
	v_pk_mul_f32 v[156:157], v[30:31], v[156:157]              // 000000004CC8: D3B1409C 1803391E
	v_pk_mul_f32 v[158:159], v[30:31], v[158:159]              // 000000004CD0: D3B1409E 18033D1E
	v_pk_mul_f32 v[160:161], v[30:31], v[160:161]              // 000000004CD8: D3B140A0 1803411E
	v_pk_mul_f32 v[162:163], v[30:31], v[162:163]              // 000000004CE0: D3B140A2 1803451E
	v_pk_mul_f32 v[164:165], v[30:31], v[164:165]              // 000000004CE8: D3B140A4 1803491E
	v_pk_mul_f32 v[166:167], v[30:31], v[166:167]              // 000000004CF0: D3B140A6 18034D1E
	v_pk_mul_f32 v[168:169], v[30:31], v[168:169]              // 000000004CF8: D3B140A8 1803511E
	v_pk_mul_f32 v[170:171], v[30:31], v[170:171]              // 000000004D00: D3B140AA 1803551E
	v_pk_mul_f32 v[172:173], v[30:31], v[172:173]              // 000000004D08: D3B140AC 1803591E
	v_pk_mul_f32 v[174:175], v[30:31], v[174:175]              // 000000004D10: D3B140AE 18035D1E
	v_pk_mul_f32 v[176:177], v[30:31], v[176:177]              // 000000004D18: D3B140B0 1803611E
	v_mfma_f32_16x16x32_bf16 v[46:49], a[140:143], a[68:71], v[46:49]// 000000004D20: D3B5002E 1CBA898C
	s_addk_i32 s70, 0x1                                        // 000000004D28: B7460001
	s_cmp_lt_i32 s70, s71                                      // 000000004D2C: BF044746
	s_cbranch_scc0 label_3B18                                  // 000000004D30: BF8404B9
	s_waitcnt lgkmcnt(0)                                       // 000000004D34: BF8CC07F
	v_mul_u32_u24_e64 v32, v24, s68                            // 000000004D38: D1080020 00008918
	v_add_u32_e32 v32, v32, v1                                 // 000000004D40: 68400320
	v_mfma_f32_16x16x32_bf16 v[50:53], a[144:147], v[34:37], v[50:53]// 000000004D44: D3B50032 0CCA4590
	v_mov_b32_e32 v29, v42                                     // 000000004D4C: 7E3A032A
	v_max3_f32 v29, v42, v43, v29                              // 000000004D50: D1D3001D 0476572A
	v_mfma_f32_16x16x32_bf16 v[54:57], a[148:151], v[34:37], v[54:57]// 000000004D58: D3B50036 0CDA4594
	ds_read_b64_tr_b16 a[144:145], v8 offset:8192              // 000000004D60: DBC62000 90000008
	ds_read_b64_tr_b16 a[146:147], v8 offset:8448              // 000000004D68: DBC62100 92000008
	v_mfma_f32_16x16x32_bf16 v[58:61], a[152:155], v[34:37], v[58:61]// 000000004D70: D3B5003A 0CEA4598
	v_max3_f32 v29, v44, v45, v29                              // 000000004D78: D1D3001D 04765B2C
	v_max3_f32 v29, v46, v47, v29                              // 000000004D80: D1D3001D 04765F2E
	v_mfma_f32_16x16x32_bf16 v[62:65], a[156:159], v[34:37], v[62:65]// 000000004D88: D3B5003E 0CFA459C
	ds_read_b64_tr_b16 a[148:149], v9 offset:8192              // 000000004D90: DBC62000 94000009
	ds_read_b64_tr_b16 a[150:151], v9 offset:8448              // 000000004D98: DBC62100 96000009
	v_mfma_f32_16x16x32_bf16 v[66:69], a[160:163], v[34:37], v[66:69]// 000000004DA0: D3B50042 0D0A45A0
	v_max3_f32 v29, v48, v49, v29                              // 000000004DA8: D1D3001D 04766330
	v_mov_b32_e32 v28, v29                                     // 000000004DB0: 7E38031D
	v_mfma_f32_16x16x32_bf16 v[70:73], a[164:167], v[34:37], v[70:73]// 000000004DB4: D3B50046 0D1A45A4
	ds_read_b64_tr_b16 a[152:153], v8 offset:9216              // 000000004DBC: DBC62400 98000008
	ds_read_b64_tr_b16 a[154:155], v8 offset:9472              // 000000004DC4: DBC62500 9A000008
	v_mfma_f32_16x16x32_bf16 v[74:77], a[168:171], v[34:37], v[74:77]// 000000004DCC: D3B5004A 0D2A45A8
	v_mov_b32_e32 v29, v29                                     // 000000004DD4: 7E3A031D
	s_nop 1                                                    // 000000004DD8: BF800001
	v_mfma_f32_16x16x32_bf16 v[78:81], a[172:175], v[34:37], v[78:81]// 000000004DDC: D3B5004E 0D3A45AC
	ds_read_b64_tr_b16 a[156:157], v9 offset:9216              // 000000004DE4: DBC62400 9C000009
	ds_read_b64_tr_b16 a[158:159], v9 offset:9472              // 000000004DEC: DBC62500 9E000009
	v_mfma_f32_16x16x32_bf16 v[82:85], a[176:179], v[34:37], v[82:85]// 000000004DF4: D3B50052 0D4A45B0
	v_permlane16_swap_b32_e32 v28, v29                         // 000000004DFC: 7E38B31D
	v_mfma_f32_16x16x32_bf16 v[86:89], a[180:183], v[34:37], v[86:89]// 000000004E00: D3B50056 0D5A45B4
	ds_read_b64_tr_b16 a[160:161], v8 offset:10240             // 000000004E08: DBC62800 A0000008
	ds_read_b64_tr_b16 a[162:163], v8 offset:10496             // 000000004E10: DBC62900 A2000008
	v_mfma_f32_16x16x32_bf16 v[90:93], a[184:187], v[34:37], v[90:93]// 000000004E18: D3B5005A 0D6A45B8
	v_mov_b32_e32 v31, v28                                     // 000000004E20: 7E3E031C
	v_mov_b32_e32 v30, v29                                     // 000000004E24: 7E3C031D
	v_mfma_f32_16x16x32_bf16 v[94:97], a[188:191], v[34:37], v[94:97]// 000000004E28: D3B5005E 0D7A45BC
	ds_read_b64_tr_b16 a[164:165], v9 offset:10240             // 000000004E30: DBC62800 A4000009
	ds_read_b64_tr_b16 a[166:167], v9 offset:10496             // 000000004E38: DBC62900 A6000009
	v_mfma_f32_16x16x32_bf16 v[98:101], a[192:195], v[34:37], v[98:101]// 000000004E40: D3B50062 0D8A45C0
	s_nop 1                                                    // 000000004E48: BF800001
	v_permlane32_swap_b32_e32 v28, v29                         // 000000004E4C: 7E38B51D
	v_mfma_f32_16x16x32_bf16 v[102:105], a[196:199], v[34:37], v[102:105]// 000000004E50: D3B50066 0D9A45C4
	ds_read_b64_tr_b16 a[168:169], v8 offset:11264             // 000000004E58: DBC62C00 A8000008
	ds_read_b64_tr_b16 a[170:171], v8 offset:11520             // 000000004E60: DBC62D00 AA000008
	v_mfma_f32_16x16x32_bf16 v[106:109], a[200:203], v[34:37], v[106:109]// 000000004E68: D3B5006A 0DAA45C8
	v_permlane32_swap_b32_e32 v30, v31                         // 000000004E70: 7E3CB51F
	v_mfma_f32_16x16x32_bf16 v[110:113], a[204:207], v[34:37], v[110:113]// 000000004E74: D3B5006E 0DBA45CC
	ds_read_b64_tr_b16 a[172:173], v9 offset:11264             // 000000004E7C: DBC62C00 AC000009
	ds_read_b64_tr_b16 a[174:175], v9 offset:11520             // 000000004E84: DBC62D00 AE000009
	ds_read_b64_tr_b16 a[176:177], v8 offset:12288             // 000000004E8C: DBC63000 B0000008
	ds_read_b64_tr_b16 a[178:179], v8 offset:12544             // 000000004E94: DBC63100 B2000008
	ds_read_b64_tr_b16 a[180:181], v9 offset:12288             // 000000004E9C: DBC63000 B4000009
	ds_read_b64_tr_b16 a[182:183], v9 offset:12544             // 000000004EA4: DBC63100 B6000009
	ds_read_b64_tr_b16 a[184:185], v8 offset:13312             // 000000004EAC: DBC63400 B8000008
	ds_read_b64_tr_b16 a[186:187], v8 offset:13568             // 000000004EB4: DBC63500 BA000008
	ds_read_b64_tr_b16 a[188:189], v9 offset:13312             // 000000004EBC: DBC63400 BC000009
	ds_read_b64_tr_b16 a[190:191], v9 offset:13568             // 000000004EC4: DBC63500 BE000009
	s_waitcnt lgkmcnt(0)                                       // 000000004ECC: BF8CC07F
	v_mfma_f32_16x16x32_bf16 v[114:117], a[144:147], v[34:37], v[114:117]// 000000004ED0: D3B50072 0DCA4590
	ds_read_b64_tr_b16 a[192:193], v8 offset:14336             // 000000004ED8: DBC63800 C0000008
	ds_read_b64_tr_b16 a[194:195], v8 offset:14592             // 000000004EE0: DBC63900 C2000008
	v_mfma_f32_16x16x32_bf16 v[118:121], a[148:151], v[34:37], v[118:121]// 000000004EE8: D3B50076 0DDA4594
	s_waitcnt vmcnt(10)                                        // 000000004EF0: BF8C0F7A
	s_barrier                                                  // 000000004EF4: BF8A0000
	ds_read_b128 a[72:75], v20                                 // 000000004EF8: DBFE0000 48000014
	ds_read_b128 a[76:79], v20 offset:1024                     // 000000004F00: DBFE0400 4C000014
	v_mfma_f32_16x16x32_bf16 v[122:125], a[152:155], v[34:37], v[122:125]// 000000004F08: D3B5007A 0DEA4598
	ds_read_b64_tr_b16 a[196:197], v9 offset:14336             // 000000004F10: DBC63800 C4000009
	ds_read_b64_tr_b16 a[198:199], v9 offset:14592             // 000000004F18: DBC63900 C6000009
	v_mfma_f32_16x16x32_bf16 v[126:129], a[156:159], v[34:37], v[126:129]// 000000004F20: D3B5007E 0DFA459C
	ds_read_b128 a[80:83], v20 offset:2048                     // 000000004F28: DBFE0800 50000014
	ds_read_b128 a[84:87], v20 offset:3072                     // 000000004F30: DBFE0C00 54000014
	v_mfma_f32_16x16x32_bf16 v[130:133], a[160:163], v[34:37], v[130:133]// 000000004F38: D3B50082 0E0A45A0
	ds_read_b64_tr_b16 a[200:201], v8 offset:15360             // 000000004F40: DBC63C00 C8000008
	ds_read_b64_tr_b16 a[202:203], v8 offset:15616             // 000000004F48: DBC63D00 CA000008
	v_mfma_f32_16x16x32_bf16 v[134:137], a[164:167], v[34:37], v[134:137]// 000000004F50: D3B50086 0E1A45A4
	ds_read_b128 a[88:91], v20 offset:4096                     // 000000004F58: DBFE1000 58000014
	ds_read_b128 a[92:95], v20 offset:5120                     // 000000004F60: DBFE1400 5C000014
	v_mfma_f32_16x16x32_bf16 v[138:141], a[168:171], v[34:37], v[138:141]// 000000004F68: D3B5008A 0E2A45A8
	ds_read_b64_tr_b16 a[204:205], v9 offset:15360             // 000000004F70: DBC63C00 CC000009
	ds_read_b64_tr_b16 a[206:207], v9 offset:15616             // 000000004F78: DBC63D00 CE000009
	v_mfma_f32_16x16x32_bf16 v[142:145], a[172:175], v[34:37], v[142:145]// 000000004F80: D3B5008E 0E3A45AC
	ds_read_b128 a[96:99], v20 offset:6144                     // 000000004F88: DBFE1800 60000014
	ds_read_b128 a[100:103], v20 offset:7168                   // 000000004F90: DBFE1C00 64000014
	v_mfma_f32_16x16x32_bf16 v[146:149], a[176:179], v[34:37], v[146:149]// 000000004F98: D3B50092 0E4A45B0
	v_max3_f32 v29, v28, v29, v29                              // 000000004FA0: D1D3001D 04763B1C
	v_max3_f32 v29, v30, v31, v29                              // 000000004FA8: D1D3001D 04763F1E
	v_mfma_f32_16x16x32_bf16 v[150:153], a[180:183], v[34:37], v[150:153]// 000000004FB0: D3B50096 0E5A45B4
	ds_read_b128 a[104:107], v20 offset:8192                   // 000000004FB8: DBFE2000 68000014
	ds_read_b128 a[108:111], v20 offset:9216                   // 000000004FC0: DBFE2400 6C000014
	v_mfma_f32_16x16x32_bf16 v[154:157], a[184:187], v[34:37], v[154:157]// 000000004FC8: D3B5009A 0E6A45B8
	v_mov_b32_e32 v28, 0xff800000                              // 000000004FD0: 7E3802FF FF800000
	v_cmp_eq_u32_e64 s[36:37], v28, v2                         // 000000004FD8: D0CA0024 0002051C
	v_mfma_f32_16x16x32_bf16 v[158:161], a[188:191], v[34:37], v[158:161]// 000000004FE0: D3B5009E 0E7A45BC
	ds_read_b128 a[112:115], v20 offset:10240                  // 000000004FE8: DBFE2800 70000014
	ds_read_b128 a[116:119], v20 offset:11264                  // 000000004FF0: DBFE2C00 74000014
	v_mfma_f32_16x16x32_bf16 v[162:165], a[192:195], v[34:37], v[162:165]// 000000004FF8: D3B500A2 0E8A45C0
	v_max_f32_e32 v29, v29, v2                                 // 000000005000: 163A051D
	v_sub_f32_e32 v16, v2, v29                                 // 000000005004: 04203B02
	v_mfma_f32_16x16x32_bf16 v[166:169], a[196:199], v[34:37], v[166:169]// 000000005008: D3B500A6 0E9A45C4
	ds_read_b128 a[120:123], v20 offset:12288                  // 000000005010: DBFE3000 78000014
	ds_read_b128 a[124:127], v20 offset:13312                  // 000000005018: DBFE3400 7C000014
	v_mfma_f32_16x16x32_bf16 v[170:173], a[200:203], v[34:37], v[170:173]// 000000005020: D3B500AA 0EAA45C8
	v_cndmask_b32_e64 v16, v16, 0, s[36:37]                    // 000000005028: D1000010 00910110
	v_mov_b32_e32 v2, v29                                      // 000000005030: 7E04031D
	v_mfma_f32_16x16x32_bf16 v[174:177], a[204:207], v[34:37], v[174:177]// 000000005034: D3B500AE 0EBA45CC
	ds_read_b128 a[128:131], v20 offset:14336                  // 00000000503C: DBFE3800 80000014
	ds_read_b128 a[132:135], v20 offset:15360                  // 000000005044: DBFE3C00 84000014
	ds_read_b128 a[136:139], v20 offset:16384                  // 00000000504C: DBFE4000 88000014
	ds_read_b128 a[140:143], v20 offset:17408                  // 000000005054: DBFE4400 8C000014
	s_waitcnt lgkmcnt(0)                                       // 00000000505C: BF8CC07F
	v_mfma_f32_16x16x32_bf16 v[34:37], a[72:75], a[0:3], 0     // 000000005060: D3B50022 1A020148
	buffer_load_dword v22, v26, s[24:27], 0 offen              // 000000005068: E0501000 8006161A
	v_mul_f32_e32 v29, s5, v29                                 // 000000005070: 0A3A3A05
	s_mov_b32 s56, 0x2000                                      // 000000005074: BEB800FF 00002000
	s_mul_i32 s57, s7, 0x2400                                  // 00000000507C: 9239FF07 00002400
	s_add_u32 m0, s56, s57                                     // 000000005084: 807C3938
	buffer_load_dwordx4 v32, s[20:23], 0 offen lds             // 000000005088: E05D1000 80050020
	s_add_i32 m0, m0, 0x3c0                                    // 000000005090: 817CFF7C 000003C0
	v_mfma_f32_16x16x32_bf16 v[34:37], a[76:79], a[4:7], v[34:37]// 000000005098: D3B50022 1C8A094C
	buffer_load_dwordx4 v32, s[20:23], 0 offen offset:64 lds   // 0000000050A0: E05D1040 80050020
	s_add_i32 m0, m0, 0x3c0                                    // 0000000050A8: 817CFF7C 000003C0
	v_mfma_f32_16x16x32_bf16 v[34:37], a[80:83], a[8:11], v[34:37]// 0000000050B0: D3B50022 1C8A1150
	v_mul_f32_e32 v16, s5, v16                                 // 0000000050B8: 0A202005
	v_exp_f32_e32 v16, v16                                     // 0000000050BC: 7E204110
	v_mfma_f32_16x16x32_bf16 v[34:37], a[84:87], a[12:15], v[34:37]// 0000000050C0: D3B50022 1C8A1954
	v_add_u32_e32 v26, s73, v26                                // 0000000050C8: 68343449
	ds_read_b128 a[72:75], v20 offset:18432                    // 0000000050CC: DBFE4800 48000014
	ds_read_b128 a[76:79], v20 offset:19456                    // 0000000050D4: DBFE4C00 4C000014
	v_fma_f32 v42, v42, s5, -v29                               // 0000000050DC: D1CB002A 84740B2A
	v_mfma_f32_16x16x32_bf16 v[34:37], a[88:91], a[16:19], v[34:37]// 0000000050E4: D3B50022 1C8A2158
	ds_read_b128 a[80:83], v20 offset:20480                    // 0000000050EC: DBFE5000 50000014
	ds_read_b128 a[84:87], v20 offset:21504                    // 0000000050F4: DBFE5400 54000014
	v_fma_f32 v43, v43, s5, -v29                               // 0000000050FC: D1CB002B 84740B2B
	v_mfma_f32_16x16x32_bf16 v[34:37], a[92:95], a[20:23], v[34:37]// 000000005104: D3B50022 1C8A295C
	buffer_load_dwordx4 v32, s[20:23], 0 offen offset:128 lds  // 00000000510C: E05D1080 80050020
	s_add_i32 m0, m0, 0x3c0                                    // 000000005114: 817CFF7C 000003C0
	v_mfma_f32_16x16x32_bf16 v[34:37], a[96:99], a[24:27], v[34:37]// 00000000511C: D3B50022 1C8A3160
	v_fma_f32 v44, v44, s5, -v29                               // 000000005124: D1CB002C 84740B2C
	v_fma_f32 v45, v45, s5, -v29                               // 00000000512C: D1CB002D 84740B2D
	v_mfma_f32_16x16x32_bf16 v[34:37], a[100:103], a[28:31], v[34:37]// 000000005134: D3B50022 1C8A3964
	ds_read_b128 a[88:91], v20 offset:22528                    // 00000000513C: DBFE5800 58000014
	ds_read_b128 a[92:95], v20 offset:23552                    // 000000005144: DBFE5C00 5C000014
	v_fma_f32 v46, v46, s5, -v29                               // 00000000514C: D1CB002E 84740B2E
	v_mfma_f32_16x16x32_bf16 v[34:37], a[104:107], a[32:35], v[34:37]// 000000005154: D3B50022 1C8A4168
	ds_read_b128 a[96:99], v20 offset:24576                    // 00000000515C: DBFE6000 60000014
	ds_read_b128 a[100:103], v20 offset:25600                  // 000000005164: DBFE6400 64000014
	v_fma_f32 v47, v47, s5, -v29                               // 00000000516C: D1CB002F 84740B2F
	v_mfma_f32_16x16x32_bf16 v[34:37], a[108:111], a[36:39], v[34:37]// 000000005174: D3B50022 1C8A496C
	buffer_load_dwordx4 v32, s[20:23], 0 offen offset:192 lds  // 00000000517C: E05D10C0 80050020
	s_add_i32 m0, m0, 0x3c0                                    // 000000005184: 817CFF7C 000003C0
	v_mfma_f32_16x16x32_bf16 v[34:37], a[112:115], a[40:43], v[34:37]// 00000000518C: D3B50022 1C8A5170
	v_fma_f32 v48, v48, s5, -v29                               // 000000005194: D1CB0030 84740B30
	v_fma_f32 v49, v49, s5, -v29                               // 00000000519C: D1CB0031 84740B31
	v_mfma_f32_16x16x32_bf16 v[34:37], a[116:119], a[44:47], v[34:37]// 0000000051A4: D3B50022 1C8A5974
	v_exp_f32_e32 v42, v42                                     // 0000000051AC: 7E54412A
	v_mfma_f32_16x16x32_bf16 v[34:37], a[120:123], a[48:51], v[34:37]// 0000000051B0: D3B50022 1C8A6178
	ds_read_b128 a[104:107], v20 offset:26624                  // 0000000051B8: DBFE6800 68000014
	ds_read_b128 a[108:111], v20 offset:27648                  // 0000000051C0: DBFE6C00 6C000014
	v_exp_f32_e32 v43, v43                                     // 0000000051C8: 7E56412B
	v_mfma_f32_16x16x32_bf16 v[34:37], a[124:127], a[52:55], v[34:37]// 0000000051CC: D3B50022 1C8A697C
	buffer_load_dwordx4 v32, s[20:23], 0 offen offset:256 lds  // 0000000051D4: E05D1100 80050020
	s_add_i32 m0, m0, 0x3c0                                    // 0000000051DC: 817CFF7C 000003C0
	v_mfma_f32_16x16x32_bf16 v[34:37], a[128:131], a[56:59], v[34:37]// 0000000051E4: D3B50022 1C8A7180
	v_exp_f32_e32 v44, v44                                     // 0000000051EC: 7E58412C
	v_mfma_f32_16x16x32_bf16 v[34:37], a[132:135], a[60:63], v[34:37]// 0000000051F0: D3B50022 1C8A7984
	ds_read_b128 a[112:115], v20 offset:28672                  // 0000000051F8: DBFE7000 70000014
	ds_read_b128 a[116:119], v20 offset:29696                  // 000000005200: DBFE7400 74000014
	v_exp_f32_e32 v45, v45                                     // 000000005208: 7E5A412D
	v_mfma_f32_16x16x32_bf16 v[34:37], a[136:139], a[64:67], v[34:37]// 00000000520C: D3B50022 1C8A8188
	ds_read_b128 a[120:123], v20 offset:30720                  // 000000005214: DBFE7800 78000014
	ds_read_b128 a[124:127], v20 offset:31744                  // 00000000521C: DBFE7C00 7C000014
	v_exp_f32_e32 v46, v46                                     // 000000005224: 7E5C412E
	v_mfma_f32_16x16x32_bf16 v[34:37], a[140:143], a[68:71], v[34:37]// 000000005228: D3B50022 1C8A898C
	ds_read_b128 a[128:131], v20 offset:32768                  // 000000005230: DBFE8000 80000014
	ds_read_b128 a[132:135], v20 offset:33792                  // 000000005238: DBFE8400 84000014
	v_exp_f32_e32 v47, v47                                     // 000000005240: 7E5E412F
	ds_read_b128 a[136:139], v20 offset:34816                  // 000000005244: DBFE8800 88000014
	ds_read_b128 a[140:143], v20 offset:35840                  // 00000000524C: DBFE8C00 8C000014
	v_exp_f32_e32 v48, v48                                     // 000000005254: 7E604130
	v_exp_f32_e32 v49, v49                                     // 000000005258: 7E624131
	v_mul_f32_e32 v4, v16, v4                                  // 00000000525C: 0A080910
	v_mov_b32_e32 v28, v42                                     // 000000005260: 7E38032A
	v_add_f32_e32 v28, v43, v28                                // 000000005264: 0238392B
	v_add_f32_e32 v28, v44, v28                                // 000000005268: 0238392C
	v_add_f32_e32 v28, v45, v28                                // 00000000526C: 0238392D
	v_add_f32_e32 v28, v46, v28                                // 000000005270: 0238392E
	v_add_f32_e32 v28, v47, v28                                // 000000005274: 0238392F
	v_add_f32_e32 v28, v48, v28                                // 000000005278: 02383930
	v_add_f32_e32 v28, v49, v28                                // 00000000527C: 02383931
	v_add_f32_e32 v4, v28, v4                                  // 000000005280: 0208091C
	v_cvt_pk_bf16_f32 v42, v42, v43                            // 000000005284: D268002A 0002572A
	v_cvt_pk_bf16_f32 v43, v44, v45                            // 00000000528C: D268002B 00025B2C
	v_cvt_pk_bf16_f32 v44, v46, v47                            // 000000005294: D268002C 00025F2E
	v_cvt_pk_bf16_f32 v45, v48, v49                            // 00000000529C: D268002D 00026330
	s_nop 0                                                    // 0000000052A4: BF800000
	v_permlane32_swap_b32_e32 v42, v44                         // 0000000052A8: 7E54B52C
	v_permlane32_swap_b32_e32 v43, v45                         // 0000000052AC: 7E56B52D
	s_nop 0                                                    // 0000000052B0: BF800000
	v_permlane16_swap_b32_e32 v42, v44                         // 0000000052B4: 7E54B32C
	v_permlane16_swap_b32_e32 v43, v45                         // 0000000052B8: 7E56B32D
	s_waitcnt lgkmcnt(0)                                       // 0000000052BC: BF8CC07F
	v_mfma_f32_16x16x32_bf16 v[38:41], a[72:75], a[0:3], 0     // 0000000052C0: D3B50026 1A020148
	v_mul_f32_e32 v50, v16, v50                                // 0000000052C8: 0A646510
	v_mul_f32_e32 v51, v16, v51                                // 0000000052CC: 0A666710
	ds_read_b64_tr_b16 a[144:145], v10                         // 0000000052D0: DBC60000 9000000A
	ds_read_b64_tr_b16 a[146:147], v10 offset:256              // 0000000052D8: DBC60100 9200000A
	v_mfma_f32_16x16x32_bf16 v[38:41], a[76:79], a[4:7], v[38:41]// 0000000052E0: D3B50026 1C9A094C
	buffer_load_dwordx4 v32, s[20:23], 0 offen offset:320 lds  // 0000000052E8: E05D1140 80050020
	s_add_i32 m0, m0, 0x3c0                                    // 0000000052F0: 817CFF7C 000003C0
	v_mul_f32_e32 v52, v16, v52                                // 0000000052F8: 0A686910
	v_mul_f32_e32 v53, v16, v53                                // 0000000052FC: 0A6A6B10
	v_mfma_f32_16x16x32_bf16 v[38:41], a[80:83], a[8:11], v[38:41]// 000000005300: D3B50026 1C9A1150
	v_mul_f32_e32 v54, v16, v54                                // 000000005308: 0A6C6D10
	v_mul_f32_e32 v55, v16, v55                                // 00000000530C: 0A6E6F10
	ds_read_b64_tr_b16 a[148:149], v11                         // 000000005310: DBC60000 9400000B
	ds_read_b64_tr_b16 a[150:151], v11 offset:256              // 000000005318: DBC60100 9600000B
	v_mfma_f32_16x16x32_bf16 v[38:41], a[84:87], a[12:15], v[38:41]// 000000005320: D3B50026 1C9A1954
	v_mul_f32_e32 v56, v16, v56                                // 000000005328: 0A707110
	v_mul_f32_e32 v57, v16, v57                                // 00000000532C: 0A727310
	ds_read_b64_tr_b16 a[152:153], v10 offset:1024             // 000000005330: DBC60400 9800000A
	ds_read_b64_tr_b16 a[154:155], v10 offset:1280             // 000000005338: DBC60500 9A00000A
	v_mfma_f32_16x16x32_bf16 v[38:41], a[88:91], a[16:19], v[38:41]// 000000005340: D3B50026 1C9A2158
	v_mul_f32_e32 v58, v16, v58                                // 000000005348: 0A747510
	v_mul_f32_e32 v59, v16, v59                                // 00000000534C: 0A767710
	ds_read_b64_tr_b16 a[156:157], v11 offset:1024             // 000000005350: DBC60400 9C00000B
	ds_read_b64_tr_b16 a[158:159], v11 offset:1280             // 000000005358: DBC60500 9E00000B
	v_mfma_f32_16x16x32_bf16 v[38:41], a[92:95], a[20:23], v[38:41]// 000000005360: D3B50026 1C9A295C
	v_mul_f32_e32 v60, v16, v60                                // 000000005368: 0A787910
	v_mul_f32_e32 v61, v16, v61                                // 00000000536C: 0A7A7B10
	ds_read_b64_tr_b16 a[160:161], v10 offset:2048             // 000000005370: DBC60800 A000000A
	ds_read_b64_tr_b16 a[162:163], v10 offset:2304             // 000000005378: DBC60900 A200000A
	v_mfma_f32_16x16x32_bf16 v[38:41], a[96:99], a[24:27], v[38:41]// 000000005380: D3B50026 1C9A3160
	v_mul_f32_e32 v62, v16, v62                                // 000000005388: 0A7C7D10
	v_mul_f32_e32 v63, v16, v63                                // 00000000538C: 0A7E7F10
	ds_read_b64_tr_b16 a[164:165], v11 offset:2048             // 000000005390: DBC60800 A400000B
	ds_read_b64_tr_b16 a[166:167], v11 offset:2304             // 000000005398: DBC60900 A600000B
	v_mfma_f32_16x16x32_bf16 v[38:41], a[100:103], a[28:31], v[38:41]// 0000000053A0: D3B50026 1C9A3964
	buffer_load_dwordx4 v32, s[20:23], 0 offen offset:384 lds  // 0000000053A8: E05D1180 80050020
	s_add_i32 m0, m0, 0x3c0                                    // 0000000053B0: 817CFF7C 000003C0
	v_mfma_f32_16x16x32_bf16 v[38:41], a[104:107], a[32:35], v[38:41]// 0000000053B8: D3B50026 1C9A4168
	v_mul_f32_e32 v64, v16, v64                                // 0000000053C0: 0A808110
	v_mul_f32_e32 v65, v16, v65                                // 0000000053C4: 0A828310
	ds_read_b64_tr_b16 a[168:169], v10 offset:3072             // 0000000053C8: DBC60C00 A800000A
	ds_read_b64_tr_b16 a[170:171], v10 offset:3328             // 0000000053D0: DBC60D00 AA00000A
	v_mfma_f32_16x16x32_bf16 v[38:41], a[108:111], a[36:39], v[38:41]// 0000000053D8: D3B50026 1C9A496C
	v_mul_f32_e32 v66, v16, v66                                // 0000000053E0: 0A848510
	v_mul_f32_e32 v67, v16, v67                                // 0000000053E4: 0A868710
	ds_read_b64_tr_b16 a[172:173], v11 offset:3072             // 0000000053E8: DBC60C00 AC00000B
	ds_read_b64_tr_b16 a[174:175], v11 offset:3328             // 0000000053F0: DBC60D00 AE00000B
	v_mfma_f32_16x16x32_bf16 v[38:41], a[112:115], a[40:43], v[38:41]// 0000000053F8: D3B50026 1C9A5170
	v_mul_f32_e32 v68, v16, v68                                // 000000005400: 0A888910
	v_mul_f32_e32 v69, v16, v69                                // 000000005404: 0A8A8B10
	ds_read_b64_tr_b16 a[176:177], v10 offset:4096             // 000000005408: DBC61000 B000000A
	ds_read_b64_tr_b16 a[178:179], v10 offset:4352             // 000000005410: DBC61100 B200000A
	v_mfma_f32_16x16x32_bf16 v[38:41], a[116:119], a[44:47], v[38:41]// 000000005418: D3B50026 1C9A5974
	buffer_load_dwordx4 v32, s[20:23], 0 offen offset:448 lds  // 000000005420: E05D11C0 80050020
	s_add_i32 m0, m0, 0x3c0                                    // 000000005428: 817CFF7C 000003C0
	v_mul_f32_e32 v70, v16, v70                                // 000000005430: 0A8C8D10
	v_mul_f32_e32 v71, v16, v71                                // 000000005434: 0A8E8F10
	v_mfma_f32_16x16x32_bf16 v[38:41], a[120:123], a[48:51], v[38:41]// 000000005438: D3B50026 1C9A6178
	v_mul_f32_e32 v72, v16, v72                                // 000000005440: 0A909110
	v_mul_f32_e32 v73, v16, v73                                // 000000005444: 0A929310
	ds_read_b64_tr_b16 a[180:181], v11 offset:4096             // 000000005448: DBC61000 B400000B
	ds_read_b64_tr_b16 a[182:183], v11 offset:4352             // 000000005450: DBC61100 B600000B
	v_mfma_f32_16x16x32_bf16 v[38:41], a[124:127], a[52:55], v[38:41]// 000000005458: D3B50026 1C9A697C
	v_mul_f32_e32 v74, v16, v74                                // 000000005460: 0A949510
	v_mul_f32_e32 v75, v16, v75                                // 000000005464: 0A969710
	ds_read_b64_tr_b16 a[184:185], v10 offset:5120             // 000000005468: DBC61400 B800000A
	ds_read_b64_tr_b16 a[186:187], v10 offset:5376             // 000000005470: DBC61500 BA00000A
	v_mfma_f32_16x16x32_bf16 v[38:41], a[128:131], a[56:59], v[38:41]// 000000005478: D3B50026 1C9A7180
	v_mul_f32_e32 v76, v16, v76                                // 000000005480: 0A989910
	v_mul_f32_e32 v77, v16, v77                                // 000000005484: 0A9A9B10
	ds_read_b64_tr_b16 a[188:189], v11 offset:5120             // 000000005488: DBC61400 BC00000B
	ds_read_b64_tr_b16 a[190:191], v11 offset:5376             // 000000005490: DBC61500 BE00000B
	v_mfma_f32_16x16x32_bf16 v[38:41], a[132:135], a[60:63], v[38:41]// 000000005498: D3B50026 1C9A7984
	buffer_load_dwordx4 v32, s[20:23], 0 offen offset:512 lds  // 0000000054A0: E05D1200 80050020
	s_add_i32 m0, m0, 0x3c0                                    // 0000000054A8: 817CFF7C 000003C0
	v_mfma_f32_16x16x32_bf16 v[38:41], a[136:139], a[64:67], v[38:41]// 0000000054B0: D3B50026 1C9A8188
	v_mul_f32_e32 v78, v16, v78                                // 0000000054B8: 0A9C9D10
	v_mul_f32_e32 v79, v16, v79                                // 0000000054BC: 0A9E9F10
	ds_read_b64_tr_b16 a[192:193], v10 offset:6144             // 0000000054C0: DBC61800 C000000A
	ds_read_b64_tr_b16 a[194:195], v10 offset:6400             // 0000000054C8: DBC61900 C200000A
	ds_read_b64_tr_b16 a[196:197], v11 offset:6144             // 0000000054D0: DBC61800 C400000B
	ds_read_b64_tr_b16 a[198:199], v11 offset:6400             // 0000000054D8: DBC61900 C600000B
	ds_read_b64_tr_b16 a[200:201], v10 offset:7168             // 0000000054E0: DBC61C00 C800000A
	ds_read_b64_tr_b16 a[202:203], v10 offset:7424             // 0000000054E8: DBC61D00 CA00000A
	ds_read_b64_tr_b16 a[204:205], v11 offset:7168             // 0000000054F0: DBC61C00 CC00000B
	ds_read_b64_tr_b16 a[206:207], v11 offset:7424             // 0000000054F8: DBC61D00 CE00000B
	v_mov_b32_e32 v30, v16                                     // 000000005500: 7E3C0310
	v_mov_b32_e32 v31, v16                                     // 000000005504: 7E3E0310
	v_pk_mul_f32 v[80:81], v[30:31], v[80:81]                  // 000000005508: D3B14050 1802A11E
	v_pk_mul_f32 v[82:83], v[30:31], v[82:83]                  // 000000005510: D3B14052 1802A51E
	v_pk_mul_f32 v[84:85], v[30:31], v[84:85]                  // 000000005518: D3B14054 1802A91E
	v_pk_mul_f32 v[86:87], v[30:31], v[86:87]                  // 000000005520: D3B14056 1802AD1E
	v_pk_mul_f32 v[88:89], v[30:31], v[88:89]                  // 000000005528: D3B14058 1802B11E
	v_pk_mul_f32 v[90:91], v[30:31], v[90:91]                  // 000000005530: D3B1405A 1802B51E
	v_pk_mul_f32 v[92:93], v[30:31], v[92:93]                  // 000000005538: D3B1405C 1802B91E
	v_pk_mul_f32 v[94:95], v[30:31], v[94:95]                  // 000000005540: D3B1405E 1802BD1E
	v_pk_mul_f32 v[96:97], v[30:31], v[96:97]                  // 000000005548: D3B14060 1802C11E
	v_pk_mul_f32 v[98:99], v[30:31], v[98:99]                  // 000000005550: D3B14062 1802C51E
	v_pk_mul_f32 v[100:101], v[30:31], v[100:101]              // 000000005558: D3B14064 1802C91E
	v_pk_mul_f32 v[102:103], v[30:31], v[102:103]              // 000000005560: D3B14066 1802CD1E
	v_pk_mul_f32 v[104:105], v[30:31], v[104:105]              // 000000005568: D3B14068 1802D11E
	v_pk_mul_f32 v[106:107], v[30:31], v[106:107]              // 000000005570: D3B1406A 1802D51E
	v_pk_mul_f32 v[108:109], v[30:31], v[108:109]              // 000000005578: D3B1406C 1802D91E
	v_pk_mul_f32 v[110:111], v[30:31], v[110:111]              // 000000005580: D3B1406E 1802DD1E
	v_pk_mul_f32 v[112:113], v[30:31], v[112:113]              // 000000005588: D3B14070 1802E11E
	v_pk_mul_f32 v[114:115], v[30:31], v[114:115]              // 000000005590: D3B14072 1802E51E
	v_pk_mul_f32 v[116:117], v[30:31], v[116:117]              // 000000005598: D3B14074 1802E91E
	v_pk_mul_f32 v[118:119], v[30:31], v[118:119]              // 0000000055A0: D3B14076 1802ED1E
	v_pk_mul_f32 v[120:121], v[30:31], v[120:121]              // 0000000055A8: D3B14078 1802F11E
	v_pk_mul_f32 v[122:123], v[30:31], v[122:123]              // 0000000055B0: D3B1407A 1802F51E
	v_pk_mul_f32 v[124:125], v[30:31], v[124:125]              // 0000000055B8: D3B1407C 1802F91E
	v_pk_mul_f32 v[126:127], v[30:31], v[126:127]              // 0000000055C0: D3B1407E 1802FD1E
	v_pk_mul_f32 v[128:129], v[30:31], v[128:129]              // 0000000055C8: D3B14080 1803011E
	v_pk_mul_f32 v[130:131], v[30:31], v[130:131]              // 0000000055D0: D3B14082 1803051E
	v_pk_mul_f32 v[132:133], v[30:31], v[132:133]              // 0000000055D8: D3B14084 1803091E
	v_pk_mul_f32 v[134:135], v[30:31], v[134:135]              // 0000000055E0: D3B14086 18030D1E
	v_pk_mul_f32 v[136:137], v[30:31], v[136:137]              // 0000000055E8: D3B14088 1803111E
	v_pk_mul_f32 v[138:139], v[30:31], v[138:139]              // 0000000055F0: D3B1408A 1803151E
	v_pk_mul_f32 v[140:141], v[30:31], v[140:141]              // 0000000055F8: D3B1408C 1803191E
	v_pk_mul_f32 v[142:143], v[30:31], v[142:143]              // 000000005600: D3B1408E 18031D1E
	v_pk_mul_f32 v[144:145], v[30:31], v[144:145]              // 000000005608: D3B14090 1803211E
	v_pk_mul_f32 v[146:147], v[30:31], v[146:147]              // 000000005610: D3B14092 1803251E
	v_pk_mul_f32 v[148:149], v[30:31], v[148:149]              // 000000005618: D3B14094 1803291E
	v_pk_mul_f32 v[150:151], v[30:31], v[150:151]              // 000000005620: D3B14096 18032D1E
	v_pk_mul_f32 v[152:153], v[30:31], v[152:153]              // 000000005628: D3B14098 1803311E
	v_pk_mul_f32 v[154:155], v[30:31], v[154:155]              // 000000005630: D3B1409A 1803351E
	v_pk_mul_f32 v[156:157], v[30:31], v[156:157]              // 000000005638: D3B1409C 1803391E
	v_pk_mul_f32 v[158:159], v[30:31], v[158:159]              // 000000005640: D3B1409E 18033D1E
	v_pk_mul_f32 v[160:161], v[30:31], v[160:161]              // 000000005648: D3B140A0 1803411E
	v_pk_mul_f32 v[162:163], v[30:31], v[162:163]              // 000000005650: D3B140A2 1803451E
	v_pk_mul_f32 v[164:165], v[30:31], v[164:165]              // 000000005658: D3B140A4 1803491E
	v_pk_mul_f32 v[166:167], v[30:31], v[166:167]              // 000000005660: D3B140A6 18034D1E
	v_pk_mul_f32 v[168:169], v[30:31], v[168:169]              // 000000005668: D3B140A8 1803511E
	v_pk_mul_f32 v[170:171], v[30:31], v[170:171]              // 000000005670: D3B140AA 1803551E
	v_pk_mul_f32 v[172:173], v[30:31], v[172:173]              // 000000005678: D3B140AC 1803591E
	v_pk_mul_f32 v[174:175], v[30:31], v[174:175]              // 000000005680: D3B140AE 18035D1E
	v_pk_mul_f32 v[176:177], v[30:31], v[176:177]              // 000000005688: D3B140B0 1803611E
	v_mfma_f32_16x16x32_bf16 v[38:41], a[140:143], a[68:71], v[38:41]// 000000005690: D3B50026 1C9A898C
	s_addk_i32 s70, 0x1                                        // 000000005698: B7460001
	s_cmp_lt_i32 s70, s71                                      // 00000000569C: BF044746
	s_cbranch_scc0 label_3B18                                  // 0000000056A0: BF84025D
	s_waitcnt lgkmcnt(0)                                       // 0000000056A4: BF8CC07F
	v_mul_u32_u24_e64 v32, v25, s68                            // 0000000056A8: D1080020 00008919
	v_add_u32_e32 v32, v32, v1                                 // 0000000056B0: 68400320
	v_mfma_f32_16x16x32_bf16 v[50:53], a[144:147], v[42:45], v[50:53]// 0000000056B4: D3B50032 0CCA5590
	v_mov_b32_e32 v29, v34                                     // 0000000056BC: 7E3A0322
	v_max3_f32 v29, v34, v35, v29                              // 0000000056C0: D1D3001D 04764722
	v_mfma_f32_16x16x32_bf16 v[54:57], a[148:151], v[42:45], v[54:57]// 0000000056C8: D3B50036 0CDA5594
	ds_read_b64_tr_b16 a[144:145], v10 offset:8192             // 0000000056D0: DBC62000 9000000A
	ds_read_b64_tr_b16 a[146:147], v10 offset:8448             // 0000000056D8: DBC62100 9200000A
	v_mfma_f32_16x16x32_bf16 v[58:61], a[152:155], v[42:45], v[58:61]// 0000000056E0: D3B5003A 0CEA5598
	v_max3_f32 v29, v36, v37, v29                              // 0000000056E8: D1D3001D 04764B24
	v_max3_f32 v29, v38, v39, v29                              // 0000000056F0: D1D3001D 04764F26
	v_mfma_f32_16x16x32_bf16 v[62:65], a[156:159], v[42:45], v[62:65]// 0000000056F8: D3B5003E 0CFA559C
	ds_read_b64_tr_b16 a[148:149], v11 offset:8192             // 000000005700: DBC62000 9400000B
	ds_read_b64_tr_b16 a[150:151], v11 offset:8448             // 000000005708: DBC62100 9600000B
	v_mfma_f32_16x16x32_bf16 v[66:69], a[160:163], v[42:45], v[66:69]// 000000005710: D3B50042 0D0A55A0
	v_max3_f32 v29, v40, v41, v29                              // 000000005718: D1D3001D 04765328
	v_mov_b32_e32 v28, v29                                     // 000000005720: 7E38031D
	v_mfma_f32_16x16x32_bf16 v[70:73], a[164:167], v[42:45], v[70:73]// 000000005724: D3B50046 0D1A55A4
	ds_read_b64_tr_b16 a[152:153], v10 offset:9216             // 00000000572C: DBC62400 9800000A
	ds_read_b64_tr_b16 a[154:155], v10 offset:9472             // 000000005734: DBC62500 9A00000A
	v_mfma_f32_16x16x32_bf16 v[74:77], a[168:171], v[42:45], v[74:77]// 00000000573C: D3B5004A 0D2A55A8
	v_mov_b32_e32 v29, v29                                     // 000000005744: 7E3A031D
	s_nop 1                                                    // 000000005748: BF800001
	v_mfma_f32_16x16x32_bf16 v[78:81], a[172:175], v[42:45], v[78:81]// 00000000574C: D3B5004E 0D3A55AC
	ds_read_b64_tr_b16 a[156:157], v11 offset:9216             // 000000005754: DBC62400 9C00000B
	ds_read_b64_tr_b16 a[158:159], v11 offset:9472             // 00000000575C: DBC62500 9E00000B
	v_mfma_f32_16x16x32_bf16 v[82:85], a[176:179], v[42:45], v[82:85]// 000000005764: D3B50052 0D4A55B0
	v_permlane16_swap_b32_e32 v28, v29                         // 00000000576C: 7E38B31D
	v_mfma_f32_16x16x32_bf16 v[86:89], a[180:183], v[42:45], v[86:89]// 000000005770: D3B50056 0D5A55B4
	ds_read_b64_tr_b16 a[160:161], v10 offset:10240            // 000000005778: DBC62800 A000000A
	ds_read_b64_tr_b16 a[162:163], v10 offset:10496            // 000000005780: DBC62900 A200000A
	v_mfma_f32_16x16x32_bf16 v[90:93], a[184:187], v[42:45], v[90:93]// 000000005788: D3B5005A 0D6A55B8
	v_mov_b32_e32 v31, v28                                     // 000000005790: 7E3E031C
	v_mov_b32_e32 v30, v29                                     // 000000005794: 7E3C031D
	v_mfma_f32_16x16x32_bf16 v[94:97], a[188:191], v[42:45], v[94:97]// 000000005798: D3B5005E 0D7A55BC
	ds_read_b64_tr_b16 a[164:165], v11 offset:10240            // 0000000057A0: DBC62800 A400000B
	ds_read_b64_tr_b16 a[166:167], v11 offset:10496            // 0000000057A8: DBC62900 A600000B
	v_mfma_f32_16x16x32_bf16 v[98:101], a[192:195], v[42:45], v[98:101]// 0000000057B0: D3B50062 0D8A55C0
	s_nop 1                                                    // 0000000057B8: BF800001
	v_permlane32_swap_b32_e32 v28, v29                         // 0000000057BC: 7E38B51D
	v_mfma_f32_16x16x32_bf16 v[102:105], a[196:199], v[42:45], v[102:105]// 0000000057C0: D3B50066 0D9A55C4
	ds_read_b64_tr_b16 a[168:169], v10 offset:11264            // 0000000057C8: DBC62C00 A800000A
	ds_read_b64_tr_b16 a[170:171], v10 offset:11520            // 0000000057D0: DBC62D00 AA00000A
	v_mfma_f32_16x16x32_bf16 v[106:109], a[200:203], v[42:45], v[106:109]// 0000000057D8: D3B5006A 0DAA55C8
	v_permlane32_swap_b32_e32 v30, v31                         // 0000000057E0: 7E3CB51F
	v_mfma_f32_16x16x32_bf16 v[110:113], a[204:207], v[42:45], v[110:113]// 0000000057E4: D3B5006E 0DBA55CC
	ds_read_b64_tr_b16 a[172:173], v11 offset:11264            // 0000000057EC: DBC62C00 AC00000B
	ds_read_b64_tr_b16 a[174:175], v11 offset:11520            // 0000000057F4: DBC62D00 AE00000B
	ds_read_b64_tr_b16 a[176:177], v10 offset:12288            // 0000000057FC: DBC63000 B000000A
	ds_read_b64_tr_b16 a[178:179], v10 offset:12544            // 000000005804: DBC63100 B200000A
	ds_read_b64_tr_b16 a[180:181], v11 offset:12288            // 00000000580C: DBC63000 B400000B
	ds_read_b64_tr_b16 a[182:183], v11 offset:12544            // 000000005814: DBC63100 B600000B
	ds_read_b64_tr_b16 a[184:185], v10 offset:13312            // 00000000581C: DBC63400 B800000A
	ds_read_b64_tr_b16 a[186:187], v10 offset:13568            // 000000005824: DBC63500 BA00000A
	ds_read_b64_tr_b16 a[188:189], v11 offset:13312            // 00000000582C: DBC63400 BC00000B
	ds_read_b64_tr_b16 a[190:191], v11 offset:13568            // 000000005834: DBC63500 BE00000B
	s_waitcnt lgkmcnt(0)                                       // 00000000583C: BF8CC07F
	v_mfma_f32_16x16x32_bf16 v[114:117], a[144:147], v[42:45], v[114:117]// 000000005840: D3B50072 0DCA5590
	ds_read_b64_tr_b16 a[192:193], v10 offset:14336            // 000000005848: DBC63800 C000000A
	ds_read_b64_tr_b16 a[194:195], v10 offset:14592            // 000000005850: DBC63900 C200000A
	v_mfma_f32_16x16x32_bf16 v[118:121], a[148:151], v[42:45], v[118:121]// 000000005858: D3B50076 0DDA5594
	s_waitcnt vmcnt(10)                                        // 000000005860: BF8C0F7A
	s_barrier                                                  // 000000005864: BF8A0000
	ds_read_b128 a[72:75], v21                                 // 000000005868: DBFE0000 48000015
	ds_read_b128 a[76:79], v21 offset:1024                     // 000000005870: DBFE0400 4C000015
	v_mfma_f32_16x16x32_bf16 v[122:125], a[152:155], v[42:45], v[122:125]// 000000005878: D3B5007A 0DEA5598
	ds_read_b64_tr_b16 a[196:197], v11 offset:14336            // 000000005880: DBC63800 C400000B
	ds_read_b64_tr_b16 a[198:199], v11 offset:14592            // 000000005888: DBC63900 C600000B
	v_mfma_f32_16x16x32_bf16 v[126:129], a[156:159], v[42:45], v[126:129]// 000000005890: D3B5007E 0DFA559C
	ds_read_b128 a[80:83], v21 offset:2048                     // 000000005898: DBFE0800 50000015
	ds_read_b128 a[84:87], v21 offset:3072                     // 0000000058A0: DBFE0C00 54000015
	v_mfma_f32_16x16x32_bf16 v[130:133], a[160:163], v[42:45], v[130:133]// 0000000058A8: D3B50082 0E0A55A0
	ds_read_b64_tr_b16 a[200:201], v10 offset:15360            // 0000000058B0: DBC63C00 C800000A
	ds_read_b64_tr_b16 a[202:203], v10 offset:15616            // 0000000058B8: DBC63D00 CA00000A
	v_mfma_f32_16x16x32_bf16 v[134:137], a[164:167], v[42:45], v[134:137]// 0000000058C0: D3B50086 0E1A55A4
	ds_read_b128 a[88:91], v21 offset:4096                     // 0000000058C8: DBFE1000 58000015
	ds_read_b128 a[92:95], v21 offset:5120                     // 0000000058D0: DBFE1400 5C000015
	v_mfma_f32_16x16x32_bf16 v[138:141], a[168:171], v[42:45], v[138:141]// 0000000058D8: D3B5008A 0E2A55A8
	ds_read_b64_tr_b16 a[204:205], v11 offset:15360            // 0000000058E0: DBC63C00 CC00000B
	ds_read_b64_tr_b16 a[206:207], v11 offset:15616            // 0000000058E8: DBC63D00 CE00000B
	v_mfma_f32_16x16x32_bf16 v[142:145], a[172:175], v[42:45], v[142:145]// 0000000058F0: D3B5008E 0E3A55AC
	ds_read_b128 a[96:99], v21 offset:6144                     // 0000000058F8: DBFE1800 60000015
	ds_read_b128 a[100:103], v21 offset:7168                   // 000000005900: DBFE1C00 64000015
	v_mfma_f32_16x16x32_bf16 v[146:149], a[176:179], v[42:45], v[146:149]// 000000005908: D3B50092 0E4A55B0
	v_max3_f32 v29, v28, v29, v29                              // 000000005910: D1D3001D 04763B1C
	v_max3_f32 v29, v30, v31, v29                              // 000000005918: D1D3001D 04763F1E
	v_mfma_f32_16x16x32_bf16 v[150:153], a[180:183], v[42:45], v[150:153]// 000000005920: D3B50096 0E5A55B4
	ds_read_b128 a[104:107], v21 offset:8192                   // 000000005928: DBFE2000 68000015
	ds_read_b128 a[108:111], v21 offset:9216                   // 000000005930: DBFE2400 6C000015
	v_mfma_f32_16x16x32_bf16 v[154:157], a[184:187], v[42:45], v[154:157]// 000000005938: D3B5009A 0E6A55B8
	v_mov_b32_e32 v28, 0xff800000                              // 000000005940: 7E3802FF FF800000
	v_cmp_eq_u32_e64 s[36:37], v28, v2                         // 000000005948: D0CA0024 0002051C
	v_mfma_f32_16x16x32_bf16 v[158:161], a[188:191], v[42:45], v[158:161]// 000000005950: D3B5009E 0E7A55BC
	ds_read_b128 a[112:115], v21 offset:10240                  // 000000005958: DBFE2800 70000015
	ds_read_b128 a[116:119], v21 offset:11264                  // 000000005960: DBFE2C00 74000015
	v_mfma_f32_16x16x32_bf16 v[162:165], a[192:195], v[42:45], v[162:165]// 000000005968: D3B500A2 0E8A55C0
	v_max_f32_e32 v29, v29, v2                                 // 000000005970: 163A051D
	v_sub_f32_e32 v16, v2, v29                                 // 000000005974: 04203B02
	v_mfma_f32_16x16x32_bf16 v[166:169], a[196:199], v[42:45], v[166:169]// 000000005978: D3B500A6 0E9A55C4
	ds_read_b128 a[120:123], v21 offset:12288                  // 000000005980: DBFE3000 78000015
	ds_read_b128 a[124:127], v21 offset:13312                  // 000000005988: DBFE3400 7C000015
	v_mfma_f32_16x16x32_bf16 v[170:173], a[200:203], v[42:45], v[170:173]// 000000005990: D3B500AA 0EAA55C8
	v_cndmask_b32_e64 v16, v16, 0, s[36:37]                    // 000000005998: D1000010 00910110
	v_mov_b32_e32 v2, v29                                      // 0000000059A0: 7E04031D
	v_mfma_f32_16x16x32_bf16 v[174:177], a[204:207], v[42:45], v[174:177]// 0000000059A4: D3B500AE 0EBA55CC
	ds_read_b128 a[128:131], v21 offset:14336                  // 0000000059AC: DBFE3800 80000015
	ds_read_b128 a[132:135], v21 offset:15360                  // 0000000059B4: DBFE3C00 84000015
	ds_read_b128 a[136:139], v21 offset:16384                  // 0000000059BC: DBFE4000 88000015
	ds_read_b128 a[140:143], v21 offset:17408                  // 0000000059C4: DBFE4400 8C000015
	s_waitcnt lgkmcnt(0)                                       // 0000000059CC: BF8CC07F
	v_mfma_f32_16x16x32_bf16 v[42:45], a[72:75], a[0:3], 0     // 0000000059D0: D3B5002A 1A020148
	buffer_load_dword v23, v26, s[24:27], 0 offen              // 0000000059D8: E0501000 8006171A
	v_mul_f32_e32 v29, s5, v29                                 // 0000000059E0: 0A3A3A05
	s_mov_b32 s56, 0xb000                                      // 0000000059E4: BEB800FF 0000B000
	s_mul_i32 s57, s7, 0x2400                                  // 0000000059EC: 9239FF07 00002400
	s_add_u32 m0, s56, s57                                     // 0000000059F4: 807C3938
	buffer_load_dwordx4 v32, s[20:23], 0 offen lds             // 0000000059F8: E05D1000 80050020
	s_add_i32 m0, m0, 0x3c0                                    // 000000005A00: 817CFF7C 000003C0
	v_mfma_f32_16x16x32_bf16 v[42:45], a[76:79], a[4:7], v[42:45]// 000000005A08: D3B5002A 1CAA094C
	buffer_load_dwordx4 v32, s[20:23], 0 offen offset:64 lds   // 000000005A10: E05D1040 80050020
	s_add_i32 m0, m0, 0x3c0                                    // 000000005A18: 817CFF7C 000003C0
	v_mfma_f32_16x16x32_bf16 v[42:45], a[80:83], a[8:11], v[42:45]// 000000005A20: D3B5002A 1CAA1150
	v_mul_f32_e32 v16, s5, v16                                 // 000000005A28: 0A202005
	v_exp_f32_e32 v16, v16                                     // 000000005A2C: 7E204110
	v_mfma_f32_16x16x32_bf16 v[42:45], a[84:87], a[12:15], v[42:45]// 000000005A30: D3B5002A 1CAA1954
	v_add_u32_e32 v26, s73, v26                                // 000000005A38: 68343449
	ds_read_b128 a[72:75], v21 offset:18432                    // 000000005A3C: DBFE4800 48000015
	ds_read_b128 a[76:79], v21 offset:19456                    // 000000005A44: DBFE4C00 4C000015
	v_fma_f32 v34, v34, s5, -v29                               // 000000005A4C: D1CB0022 84740B22
	v_mfma_f32_16x16x32_bf16 v[42:45], a[88:91], a[16:19], v[42:45]// 000000005A54: D3B5002A 1CAA2158
	ds_read_b128 a[80:83], v21 offset:20480                    // 000000005A5C: DBFE5000 50000015
	ds_read_b128 a[84:87], v21 offset:21504                    // 000000005A64: DBFE5400 54000015
	v_fma_f32 v35, v35, s5, -v29                               // 000000005A6C: D1CB0023 84740B23
	v_mfma_f32_16x16x32_bf16 v[42:45], a[92:95], a[20:23], v[42:45]// 000000005A74: D3B5002A 1CAA295C
	buffer_load_dwordx4 v32, s[20:23], 0 offen offset:128 lds  // 000000005A7C: E05D1080 80050020
	s_add_i32 m0, m0, 0x3c0                                    // 000000005A84: 817CFF7C 000003C0
	v_mfma_f32_16x16x32_bf16 v[42:45], a[96:99], a[24:27], v[42:45]// 000000005A8C: D3B5002A 1CAA3160
	v_fma_f32 v36, v36, s5, -v29                               // 000000005A94: D1CB0024 84740B24
	v_fma_f32 v37, v37, s5, -v29                               // 000000005A9C: D1CB0025 84740B25
	v_mfma_f32_16x16x32_bf16 v[42:45], a[100:103], a[28:31], v[42:45]// 000000005AA4: D3B5002A 1CAA3964
	ds_read_b128 a[88:91], v21 offset:22528                    // 000000005AAC: DBFE5800 58000015
	ds_read_b128 a[92:95], v21 offset:23552                    // 000000005AB4: DBFE5C00 5C000015
	v_fma_f32 v38, v38, s5, -v29                               // 000000005ABC: D1CB0026 84740B26
	v_mfma_f32_16x16x32_bf16 v[42:45], a[104:107], a[32:35], v[42:45]// 000000005AC4: D3B5002A 1CAA4168
	ds_read_b128 a[96:99], v21 offset:24576                    // 000000005ACC: DBFE6000 60000015
	ds_read_b128 a[100:103], v21 offset:25600                  // 000000005AD4: DBFE6400 64000015
	v_fma_f32 v39, v39, s5, -v29                               // 000000005ADC: D1CB0027 84740B27
	v_mfma_f32_16x16x32_bf16 v[42:45], a[108:111], a[36:39], v[42:45]// 000000005AE4: D3B5002A 1CAA496C
	buffer_load_dwordx4 v32, s[20:23], 0 offen offset:192 lds  // 000000005AEC: E05D10C0 80050020
	s_add_i32 m0, m0, 0x3c0                                    // 000000005AF4: 817CFF7C 000003C0
	v_mfma_f32_16x16x32_bf16 v[42:45], a[112:115], a[40:43], v[42:45]// 000000005AFC: D3B5002A 1CAA5170
	v_fma_f32 v40, v40, s5, -v29                               // 000000005B04: D1CB0028 84740B28
	v_fma_f32 v41, v41, s5, -v29                               // 000000005B0C: D1CB0029 84740B29
	v_mfma_f32_16x16x32_bf16 v[42:45], a[116:119], a[44:47], v[42:45]// 000000005B14: D3B5002A 1CAA5974
	v_exp_f32_e32 v34, v34                                     // 000000005B1C: 7E444122
	v_mfma_f32_16x16x32_bf16 v[42:45], a[120:123], a[48:51], v[42:45]// 000000005B20: D3B5002A 1CAA6178
	ds_read_b128 a[104:107], v21 offset:26624                  // 000000005B28: DBFE6800 68000015
	ds_read_b128 a[108:111], v21 offset:27648                  // 000000005B30: DBFE6C00 6C000015
	v_exp_f32_e32 v35, v35                                     // 000000005B38: 7E464123
	v_mfma_f32_16x16x32_bf16 v[42:45], a[124:127], a[52:55], v[42:45]// 000000005B3C: D3B5002A 1CAA697C
	buffer_load_dwordx4 v32, s[20:23], 0 offen offset:256 lds  // 000000005B44: E05D1100 80050020
	s_add_i32 m0, m0, 0x3c0                                    // 000000005B4C: 817CFF7C 000003C0
	v_mfma_f32_16x16x32_bf16 v[42:45], a[128:131], a[56:59], v[42:45]// 000000005B54: D3B5002A 1CAA7180
	v_exp_f32_e32 v36, v36                                     // 000000005B5C: 7E484124
	v_mfma_f32_16x16x32_bf16 v[42:45], a[132:135], a[60:63], v[42:45]// 000000005B60: D3B5002A 1CAA7984
	ds_read_b128 a[112:115], v21 offset:28672                  // 000000005B68: DBFE7000 70000015
	ds_read_b128 a[116:119], v21 offset:29696                  // 000000005B70: DBFE7400 74000015
	v_exp_f32_e32 v37, v37                                     // 000000005B78: 7E4A4125
	v_mfma_f32_16x16x32_bf16 v[42:45], a[136:139], a[64:67], v[42:45]// 000000005B7C: D3B5002A 1CAA8188
	ds_read_b128 a[120:123], v21 offset:30720                  // 000000005B84: DBFE7800 78000015
	ds_read_b128 a[124:127], v21 offset:31744                  // 000000005B8C: DBFE7C00 7C000015
	v_exp_f32_e32 v38, v38                                     // 000000005B94: 7E4C4126
	v_mfma_f32_16x16x32_bf16 v[42:45], a[140:143], a[68:71], v[42:45]// 000000005B98: D3B5002A 1CAA898C
	ds_read_b128 a[128:131], v21 offset:32768                  // 000000005BA0: DBFE8000 80000015
	ds_read_b128 a[132:135], v21 offset:33792                  // 000000005BA8: DBFE8400 84000015
	v_exp_f32_e32 v39, v39                                     // 000000005BB0: 7E4E4127
	ds_read_b128 a[136:139], v21 offset:34816                  // 000000005BB4: DBFE8800 88000015
	ds_read_b128 a[140:143], v21 offset:35840                  // 000000005BBC: DBFE8C00 8C000015
	v_exp_f32_e32 v40, v40                                     // 000000005BC4: 7E504128
	v_exp_f32_e32 v41, v41                                     // 000000005BC8: 7E524129
	v_mul_f32_e32 v4, v16, v4                                  // 000000005BCC: 0A080910
	v_mov_b32_e32 v28, v34                                     // 000000005BD0: 7E380322
	v_add_f32_e32 v28, v35, v28                                // 000000005BD4: 02383923
	v_add_f32_e32 v28, v36, v28                                // 000000005BD8: 02383924
	v_add_f32_e32 v28, v37, v28                                // 000000005BDC: 02383925
	v_add_f32_e32 v28, v38, v28                                // 000000005BE0: 02383926
	v_add_f32_e32 v28, v39, v28                                // 000000005BE4: 02383927
	v_add_f32_e32 v28, v40, v28                                // 000000005BE8: 02383928
	v_add_f32_e32 v28, v41, v28                                // 000000005BEC: 02383929
	v_add_f32_e32 v4, v28, v4                                  // 000000005BF0: 0208091C
	v_cvt_pk_bf16_f32 v34, v34, v35                            // 000000005BF4: D2680022 00024722
	v_cvt_pk_bf16_f32 v35, v36, v37                            // 000000005BFC: D2680023 00024B24
	v_cvt_pk_bf16_f32 v36, v38, v39                            // 000000005C04: D2680024 00024F26
	v_cvt_pk_bf16_f32 v37, v40, v41                            // 000000005C0C: D2680025 00025328
	s_nop 0                                                    // 000000005C14: BF800000
	v_permlane32_swap_b32_e32 v34, v36                         // 000000005C18: 7E44B524
	v_permlane32_swap_b32_e32 v35, v37                         // 000000005C1C: 7E46B525
	s_nop 0                                                    // 000000005C20: BF800000
	v_permlane16_swap_b32_e32 v34, v36                         // 000000005C24: 7E44B324
	v_permlane16_swap_b32_e32 v35, v37                         // 000000005C28: 7E46B325
	s_waitcnt lgkmcnt(0)                                       // 000000005C2C: BF8CC07F
	v_mfma_f32_16x16x32_bf16 v[46:49], a[72:75], a[0:3], 0     // 000000005C30: D3B5002E 1A020148
	v_mul_f32_e32 v50, v16, v50                                // 000000005C38: 0A646510
	v_mul_f32_e32 v51, v16, v51                                // 000000005C3C: 0A666710
	ds_read_b64_tr_b16 a[144:145], v12                         // 000000005C40: DBC60000 9000000C
	ds_read_b64_tr_b16 a[146:147], v12 offset:256              // 000000005C48: DBC60100 9200000C
	v_mfma_f32_16x16x32_bf16 v[46:49], a[76:79], a[4:7], v[46:49]// 000000005C50: D3B5002E 1CBA094C
	buffer_load_dwordx4 v32, s[20:23], 0 offen offset:320 lds  // 000000005C58: E05D1140 80050020
	s_add_i32 m0, m0, 0x3c0                                    // 000000005C60: 817CFF7C 000003C0
	v_mul_f32_e32 v52, v16, v52                                // 000000005C68: 0A686910
	v_mul_f32_e32 v53, v16, v53                                // 000000005C6C: 0A6A6B10
	v_mfma_f32_16x16x32_bf16 v[46:49], a[80:83], a[8:11], v[46:49]// 000000005C70: D3B5002E 1CBA1150
	v_mul_f32_e32 v54, v16, v54                                // 000000005C78: 0A6C6D10
	v_mul_f32_e32 v55, v16, v55                                // 000000005C7C: 0A6E6F10
	ds_read_b64_tr_b16 a[148:149], v13                         // 000000005C80: DBC60000 9400000D
	ds_read_b64_tr_b16 a[150:151], v13 offset:256              // 000000005C88: DBC60100 9600000D
	v_mfma_f32_16x16x32_bf16 v[46:49], a[84:87], a[12:15], v[46:49]// 000000005C90: D3B5002E 1CBA1954
	v_mul_f32_e32 v56, v16, v56                                // 000000005C98: 0A707110
	v_mul_f32_e32 v57, v16, v57                                // 000000005C9C: 0A727310
	ds_read_b64_tr_b16 a[152:153], v12 offset:1024             // 000000005CA0: DBC60400 9800000C
	ds_read_b64_tr_b16 a[154:155], v12 offset:1280             // 000000005CA8: DBC60500 9A00000C
	v_mfma_f32_16x16x32_bf16 v[46:49], a[88:91], a[16:19], v[46:49]// 000000005CB0: D3B5002E 1CBA2158
	v_mul_f32_e32 v58, v16, v58                                // 000000005CB8: 0A747510
	v_mul_f32_e32 v59, v16, v59                                // 000000005CBC: 0A767710
	ds_read_b64_tr_b16 a[156:157], v13 offset:1024             // 000000005CC0: DBC60400 9C00000D
	ds_read_b64_tr_b16 a[158:159], v13 offset:1280             // 000000005CC8: DBC60500 9E00000D
	v_mfma_f32_16x16x32_bf16 v[46:49], a[92:95], a[20:23], v[46:49]// 000000005CD0: D3B5002E 1CBA295C
	v_mul_f32_e32 v60, v16, v60                                // 000000005CD8: 0A787910
	v_mul_f32_e32 v61, v16, v61                                // 000000005CDC: 0A7A7B10
	ds_read_b64_tr_b16 a[160:161], v12 offset:2048             // 000000005CE0: DBC60800 A000000C
	ds_read_b64_tr_b16 a[162:163], v12 offset:2304             // 000000005CE8: DBC60900 A200000C
	v_mfma_f32_16x16x32_bf16 v[46:49], a[96:99], a[24:27], v[46:49]// 000000005CF0: D3B5002E 1CBA3160
	v_mul_f32_e32 v62, v16, v62                                // 000000005CF8: 0A7C7D10
	v_mul_f32_e32 v63, v16, v63                                // 000000005CFC: 0A7E7F10
	ds_read_b64_tr_b16 a[164:165], v13 offset:2048             // 000000005D00: DBC60800 A400000D
	ds_read_b64_tr_b16 a[166:167], v13 offset:2304             // 000000005D08: DBC60900 A600000D
	v_mfma_f32_16x16x32_bf16 v[46:49], a[100:103], a[28:31], v[46:49]// 000000005D10: D3B5002E 1CBA3964
	buffer_load_dwordx4 v32, s[20:23], 0 offen offset:384 lds  // 000000005D18: E05D1180 80050020
	s_add_i32 m0, m0, 0x3c0                                    // 000000005D20: 817CFF7C 000003C0
	v_mfma_f32_16x16x32_bf16 v[46:49], a[104:107], a[32:35], v[46:49]// 000000005D28: D3B5002E 1CBA4168
	v_mul_f32_e32 v64, v16, v64                                // 000000005D30: 0A808110
	v_mul_f32_e32 v65, v16, v65                                // 000000005D34: 0A828310
	ds_read_b64_tr_b16 a[168:169], v12 offset:3072             // 000000005D38: DBC60C00 A800000C
	ds_read_b64_tr_b16 a[170:171], v12 offset:3328             // 000000005D40: DBC60D00 AA00000C
	v_mfma_f32_16x16x32_bf16 v[46:49], a[108:111], a[36:39], v[46:49]// 000000005D48: D3B5002E 1CBA496C
	v_mul_f32_e32 v66, v16, v66                                // 000000005D50: 0A848510
	v_mul_f32_e32 v67, v16, v67                                // 000000005D54: 0A868710
	ds_read_b64_tr_b16 a[172:173], v13 offset:3072             // 000000005D58: DBC60C00 AC00000D
	ds_read_b64_tr_b16 a[174:175], v13 offset:3328             // 000000005D60: DBC60D00 AE00000D
	v_mfma_f32_16x16x32_bf16 v[46:49], a[112:115], a[40:43], v[46:49]// 000000005D68: D3B5002E 1CBA5170
	v_mul_f32_e32 v68, v16, v68                                // 000000005D70: 0A888910
	v_mul_f32_e32 v69, v16, v69                                // 000000005D74: 0A8A8B10
	ds_read_b64_tr_b16 a[176:177], v12 offset:4096             // 000000005D78: DBC61000 B000000C
	ds_read_b64_tr_b16 a[178:179], v12 offset:4352             // 000000005D80: DBC61100 B200000C
	v_mfma_f32_16x16x32_bf16 v[46:49], a[116:119], a[44:47], v[46:49]// 000000005D88: D3B5002E 1CBA5974
	buffer_load_dwordx4 v32, s[20:23], 0 offen offset:448 lds  // 000000005D90: E05D11C0 80050020
	s_add_i32 m0, m0, 0x3c0                                    // 000000005D98: 817CFF7C 000003C0
	v_mul_f32_e32 v70, v16, v70                                // 000000005DA0: 0A8C8D10
	v_mul_f32_e32 v71, v16, v71                                // 000000005DA4: 0A8E8F10
	v_mfma_f32_16x16x32_bf16 v[46:49], a[120:123], a[48:51], v[46:49]// 000000005DA8: D3B5002E 1CBA6178
	v_mul_f32_e32 v72, v16, v72                                // 000000005DB0: 0A909110
	v_mul_f32_e32 v73, v16, v73                                // 000000005DB4: 0A929310
	ds_read_b64_tr_b16 a[180:181], v13 offset:4096             // 000000005DB8: DBC61000 B400000D
	ds_read_b64_tr_b16 a[182:183], v13 offset:4352             // 000000005DC0: DBC61100 B600000D
	v_mfma_f32_16x16x32_bf16 v[46:49], a[124:127], a[52:55], v[46:49]// 000000005DC8: D3B5002E 1CBA697C
	v_mul_f32_e32 v74, v16, v74                                // 000000005DD0: 0A949510
	v_mul_f32_e32 v75, v16, v75                                // 000000005DD4: 0A969710
	ds_read_b64_tr_b16 a[184:185], v12 offset:5120             // 000000005DD8: DBC61400 B800000C
	ds_read_b64_tr_b16 a[186:187], v12 offset:5376             // 000000005DE0: DBC61500 BA00000C
	v_mfma_f32_16x16x32_bf16 v[46:49], a[128:131], a[56:59], v[46:49]// 000000005DE8: D3B5002E 1CBA7180
	v_mul_f32_e32 v76, v16, v76                                // 000000005DF0: 0A989910
	v_mul_f32_e32 v77, v16, v77                                // 000000005DF4: 0A9A9B10
	ds_read_b64_tr_b16 a[188:189], v13 offset:5120             // 000000005DF8: DBC61400 BC00000D
	ds_read_b64_tr_b16 a[190:191], v13 offset:5376             // 000000005E00: DBC61500 BE00000D
	v_mfma_f32_16x16x32_bf16 v[46:49], a[132:135], a[60:63], v[46:49]// 000000005E08: D3B5002E 1CBA7984
	buffer_load_dwordx4 v32, s[20:23], 0 offen offset:512 lds  // 000000005E10: E05D1200 80050020
	s_add_i32 m0, m0, 0x3c0                                    // 000000005E18: 817CFF7C 000003C0
	v_mfma_f32_16x16x32_bf16 v[46:49], a[136:139], a[64:67], v[46:49]// 000000005E20: D3B5002E 1CBA8188
	v_mul_f32_e32 v78, v16, v78                                // 000000005E28: 0A9C9D10
	v_mul_f32_e32 v79, v16, v79                                // 000000005E2C: 0A9E9F10
	ds_read_b64_tr_b16 a[192:193], v12 offset:6144             // 000000005E30: DBC61800 C000000C
	ds_read_b64_tr_b16 a[194:195], v12 offset:6400             // 000000005E38: DBC61900 C200000C
	ds_read_b64_tr_b16 a[196:197], v13 offset:6144             // 000000005E40: DBC61800 C400000D
	ds_read_b64_tr_b16 a[198:199], v13 offset:6400             // 000000005E48: DBC61900 C600000D
	ds_read_b64_tr_b16 a[200:201], v12 offset:7168             // 000000005E50: DBC61C00 C800000C
	ds_read_b64_tr_b16 a[202:203], v12 offset:7424             // 000000005E58: DBC61D00 CA00000C
	ds_read_b64_tr_b16 a[204:205], v13 offset:7168             // 000000005E60: DBC61C00 CC00000D
	ds_read_b64_tr_b16 a[206:207], v13 offset:7424             // 000000005E68: DBC61D00 CE00000D
	v_mov_b32_e32 v30, v16                                     // 000000005E70: 7E3C0310
	v_mov_b32_e32 v31, v16                                     // 000000005E74: 7E3E0310
	v_pk_mul_f32 v[80:81], v[30:31], v[80:81]                  // 000000005E78: D3B14050 1802A11E
	v_pk_mul_f32 v[82:83], v[30:31], v[82:83]                  // 000000005E80: D3B14052 1802A51E
	v_pk_mul_f32 v[84:85], v[30:31], v[84:85]                  // 000000005E88: D3B14054 1802A91E
	v_pk_mul_f32 v[86:87], v[30:31], v[86:87]                  // 000000005E90: D3B14056 1802AD1E
	v_pk_mul_f32 v[88:89], v[30:31], v[88:89]                  // 000000005E98: D3B14058 1802B11E
	v_pk_mul_f32 v[90:91], v[30:31], v[90:91]                  // 000000005EA0: D3B1405A 1802B51E
	v_pk_mul_f32 v[92:93], v[30:31], v[92:93]                  // 000000005EA8: D3B1405C 1802B91E
	v_pk_mul_f32 v[94:95], v[30:31], v[94:95]                  // 000000005EB0: D3B1405E 1802BD1E
	v_pk_mul_f32 v[96:97], v[30:31], v[96:97]                  // 000000005EB8: D3B14060 1802C11E
	v_pk_mul_f32 v[98:99], v[30:31], v[98:99]                  // 000000005EC0: D3B14062 1802C51E
	v_pk_mul_f32 v[100:101], v[30:31], v[100:101]              // 000000005EC8: D3B14064 1802C91E
	v_pk_mul_f32 v[102:103], v[30:31], v[102:103]              // 000000005ED0: D3B14066 1802CD1E
	v_pk_mul_f32 v[104:105], v[30:31], v[104:105]              // 000000005ED8: D3B14068 1802D11E
	v_pk_mul_f32 v[106:107], v[30:31], v[106:107]              // 000000005EE0: D3B1406A 1802D51E
	v_pk_mul_f32 v[108:109], v[30:31], v[108:109]              // 000000005EE8: D3B1406C 1802D91E
	v_pk_mul_f32 v[110:111], v[30:31], v[110:111]              // 000000005EF0: D3B1406E 1802DD1E
	v_pk_mul_f32 v[112:113], v[30:31], v[112:113]              // 000000005EF8: D3B14070 1802E11E
	v_pk_mul_f32 v[114:115], v[30:31], v[114:115]              // 000000005F00: D3B14072 1802E51E
	v_pk_mul_f32 v[116:117], v[30:31], v[116:117]              // 000000005F08: D3B14074 1802E91E
	v_pk_mul_f32 v[118:119], v[30:31], v[118:119]              // 000000005F10: D3B14076 1802ED1E
	v_pk_mul_f32 v[120:121], v[30:31], v[120:121]              // 000000005F18: D3B14078 1802F11E
	v_pk_mul_f32 v[122:123], v[30:31], v[122:123]              // 000000005F20: D3B1407A 1802F51E
	v_pk_mul_f32 v[124:125], v[30:31], v[124:125]              // 000000005F28: D3B1407C 1802F91E
	v_pk_mul_f32 v[126:127], v[30:31], v[126:127]              // 000000005F30: D3B1407E 1802FD1E
	v_pk_mul_f32 v[128:129], v[30:31], v[128:129]              // 000000005F38: D3B14080 1803011E
	v_pk_mul_f32 v[130:131], v[30:31], v[130:131]              // 000000005F40: D3B14082 1803051E
	v_pk_mul_f32 v[132:133], v[30:31], v[132:133]              // 000000005F48: D3B14084 1803091E
	v_pk_mul_f32 v[134:135], v[30:31], v[134:135]              // 000000005F50: D3B14086 18030D1E
	v_pk_mul_f32 v[136:137], v[30:31], v[136:137]              // 000000005F58: D3B14088 1803111E
	v_pk_mul_f32 v[138:139], v[30:31], v[138:139]              // 000000005F60: D3B1408A 1803151E
	v_pk_mul_f32 v[140:141], v[30:31], v[140:141]              // 000000005F68: D3B1408C 1803191E
	v_pk_mul_f32 v[142:143], v[30:31], v[142:143]              // 000000005F70: D3B1408E 18031D1E
	v_pk_mul_f32 v[144:145], v[30:31], v[144:145]              // 000000005F78: D3B14090 1803211E
	v_pk_mul_f32 v[146:147], v[30:31], v[146:147]              // 000000005F80: D3B14092 1803251E
	v_pk_mul_f32 v[148:149], v[30:31], v[148:149]              // 000000005F88: D3B14094 1803291E
	v_pk_mul_f32 v[150:151], v[30:31], v[150:151]              // 000000005F90: D3B14096 18032D1E
	v_pk_mul_f32 v[152:153], v[30:31], v[152:153]              // 000000005F98: D3B14098 1803311E
	v_pk_mul_f32 v[154:155], v[30:31], v[154:155]              // 000000005FA0: D3B1409A 1803351E
	v_pk_mul_f32 v[156:157], v[30:31], v[156:157]              // 000000005FA8: D3B1409C 1803391E
	v_pk_mul_f32 v[158:159], v[30:31], v[158:159]              // 000000005FB0: D3B1409E 18033D1E
	v_pk_mul_f32 v[160:161], v[30:31], v[160:161]              // 000000005FB8: D3B140A0 1803411E
	v_pk_mul_f32 v[162:163], v[30:31], v[162:163]              // 000000005FC0: D3B140A2 1803451E
	v_pk_mul_f32 v[164:165], v[30:31], v[164:165]              // 000000005FC8: D3B140A4 1803491E
	v_pk_mul_f32 v[166:167], v[30:31], v[166:167]              // 000000005FD0: D3B140A6 18034D1E
	v_pk_mul_f32 v[168:169], v[30:31], v[168:169]              // 000000005FD8: D3B140A8 1803511E
	v_pk_mul_f32 v[170:171], v[30:31], v[170:171]              // 000000005FE0: D3B140AA 1803551E
	v_pk_mul_f32 v[172:173], v[30:31], v[172:173]              // 000000005FE8: D3B140AC 1803591E
	v_pk_mul_f32 v[174:175], v[30:31], v[174:175]              // 000000005FF0: D3B140AE 18035D1E
	v_pk_mul_f32 v[176:177], v[30:31], v[176:177]              // 000000005FF8: D3B140B0 1803611E
	v_mfma_f32_16x16x32_bf16 v[46:49], a[140:143], a[68:71], v[46:49]// 000000006000: D3B5002E 1CBA898C
	s_addk_i32 s70, 0x1                                        // 000000006008: B7460001
	s_cmp_lt_i32 s70, s71                                      // 00000000600C: BF044746
	s_cbranch_scc0 label_3B18                                  // 000000006010: BF840001
	s_branch label_1554                                        // 000000006014: BF82F68F

0000000000006018 <label_3B18>:
	s_nop 0                                                    // 000000006018: BF800000
	s_nop 0                                                    // 00000000601C: BF800000
	s_branch label_63F0                                        // 000000006020: BF820A33

0000000000006024 <label_3B24>:
	s_waitcnt lgkmcnt(0)                                       // 000000006024: BF8CC07F
	v_mul_u32_u24_e64 v32, v22, s68                            // 000000006028: D1080020 00008916
	v_add_u32_e32 v32, v32, v1                                 // 000000006030: 68400320
	v_mfma_f32_16x16x32_bf16 v[50:53], a[144:147], v[34:37], v[50:53]// 000000006034: D3B50032 0CCA4590
	v_mov_b32_e32 v29, v42                                     // 00000000603C: 7E3A032A
	v_max3_f32 v29, v42, v43, v29                              // 000000006040: D1D3001D 0476572A
	v_mfma_f32_16x16x32_bf16 v[54:57], a[148:151], v[34:37], v[54:57]// 000000006048: D3B50036 0CDA4594
	ds_read_b64_tr_b16 a[144:145], v12 offset:8192             // 000000006050: DBC62000 9000000C
	ds_read_b64_tr_b16 a[146:147], v12 offset:8448             // 000000006058: DBC62100 9200000C
	v_mfma_f32_16x16x32_bf16 v[58:61], a[152:155], v[34:37], v[58:61]// 000000006060: D3B5003A 0CEA4598
	v_max3_f32 v29, v44, v45, v29                              // 000000006068: D1D3001D 04765B2C
	v_max3_f32 v29, v46, v47, v29                              // 000000006070: D1D3001D 04765F2E
	v_mfma_f32_16x16x32_bf16 v[62:65], a[156:159], v[34:37], v[62:65]// 000000006078: D3B5003E 0CFA459C
	ds_read_b64_tr_b16 a[148:149], v13 offset:8192             // 000000006080: DBC62000 9400000D
	ds_read_b64_tr_b16 a[150:151], v13 offset:8448             // 000000006088: DBC62100 9600000D
	v_mfma_f32_16x16x32_bf16 v[66:69], a[160:163], v[34:37], v[66:69]// 000000006090: D3B50042 0D0A45A0
	v_max3_f32 v29, v48, v49, v29                              // 000000006098: D1D3001D 04766330
	v_mov_b32_e32 v28, v29                                     // 0000000060A0: 7E38031D
	v_mfma_f32_16x16x32_bf16 v[70:73], a[164:167], v[34:37], v[70:73]// 0000000060A4: D3B50046 0D1A45A4
	ds_read_b64_tr_b16 a[152:153], v12 offset:9216             // 0000000060AC: DBC62400 9800000C
	ds_read_b64_tr_b16 a[154:155], v12 offset:9472             // 0000000060B4: DBC62500 9A00000C
	v_mfma_f32_16x16x32_bf16 v[74:77], a[168:171], v[34:37], v[74:77]// 0000000060BC: D3B5004A 0D2A45A8
	v_mov_b32_e32 v29, v29                                     // 0000000060C4: 7E3A031D
	s_nop 1                                                    // 0000000060C8: BF800001
	v_mfma_f32_16x16x32_bf16 v[78:81], a[172:175], v[34:37], v[78:81]// 0000000060CC: D3B5004E 0D3A45AC
	ds_read_b64_tr_b16 a[156:157], v13 offset:9216             // 0000000060D4: DBC62400 9C00000D
	ds_read_b64_tr_b16 a[158:159], v13 offset:9472             // 0000000060DC: DBC62500 9E00000D
	v_mfma_f32_16x16x32_bf16 v[82:85], a[176:179], v[34:37], v[82:85]// 0000000060E4: D3B50052 0D4A45B0
	v_permlane16_swap_b32_e32 v28, v29                         // 0000000060EC: 7E38B31D
	v_mfma_f32_16x16x32_bf16 v[86:89], a[180:183], v[34:37], v[86:89]// 0000000060F0: D3B50056 0D5A45B4
	ds_read_b64_tr_b16 a[160:161], v12 offset:10240            // 0000000060F8: DBC62800 A000000C
	ds_read_b64_tr_b16 a[162:163], v12 offset:10496            // 000000006100: DBC62900 A200000C
	v_mfma_f32_16x16x32_bf16 v[90:93], a[184:187], v[34:37], v[90:93]// 000000006108: D3B5005A 0D6A45B8
	v_mov_b32_e32 v31, v28                                     // 000000006110: 7E3E031C
	v_mov_b32_e32 v30, v29                                     // 000000006114: 7E3C031D
	v_mfma_f32_16x16x32_bf16 v[94:97], a[188:191], v[34:37], v[94:97]// 000000006118: D3B5005E 0D7A45BC
	ds_read_b64_tr_b16 a[164:165], v13 offset:10240            // 000000006120: DBC62800 A400000D
	ds_read_b64_tr_b16 a[166:167], v13 offset:10496            // 000000006128: DBC62900 A600000D
	v_mfma_f32_16x16x32_bf16 v[98:101], a[192:195], v[34:37], v[98:101]// 000000006130: D3B50062 0D8A45C0
	s_nop 1                                                    // 000000006138: BF800001
	v_permlane32_swap_b32_e32 v28, v29                         // 00000000613C: 7E38B51D
	v_mfma_f32_16x16x32_bf16 v[102:105], a[196:199], v[34:37], v[102:105]// 000000006140: D3B50066 0D9A45C4
	ds_read_b64_tr_b16 a[168:169], v12 offset:11264            // 000000006148: DBC62C00 A800000C
	ds_read_b64_tr_b16 a[170:171], v12 offset:11520            // 000000006150: DBC62D00 AA00000C
	v_mfma_f32_16x16x32_bf16 v[106:109], a[200:203], v[34:37], v[106:109]// 000000006158: D3B5006A 0DAA45C8
	v_permlane32_swap_b32_e32 v30, v31                         // 000000006160: 7E3CB51F
	v_mfma_f32_16x16x32_bf16 v[110:113], a[204:207], v[34:37], v[110:113]// 000000006164: D3B5006E 0DBA45CC
	ds_read_b64_tr_b16 a[172:173], v13 offset:11264            // 00000000616C: DBC62C00 AC00000D
	ds_read_b64_tr_b16 a[174:175], v13 offset:11520            // 000000006174: DBC62D00 AE00000D
	ds_read_b64_tr_b16 a[176:177], v12 offset:12288            // 00000000617C: DBC63000 B000000C
	ds_read_b64_tr_b16 a[178:179], v12 offset:12544            // 000000006184: DBC63100 B200000C
	ds_read_b64_tr_b16 a[180:181], v13 offset:12288            // 00000000618C: DBC63000 B400000D
	ds_read_b64_tr_b16 a[182:183], v13 offset:12544            // 000000006194: DBC63100 B600000D
	ds_read_b64_tr_b16 a[184:185], v12 offset:13312            // 00000000619C: DBC63400 B800000C
	ds_read_b64_tr_b16 a[186:187], v12 offset:13568            // 0000000061A4: DBC63500 BA00000C
	ds_read_b64_tr_b16 a[188:189], v13 offset:13312            // 0000000061AC: DBC63400 BC00000D
	ds_read_b64_tr_b16 a[190:191], v13 offset:13568            // 0000000061B4: DBC63500 BE00000D
	s_waitcnt lgkmcnt(0)                                       // 0000000061BC: BF8CC07F
	v_mfma_f32_16x16x32_bf16 v[114:117], a[144:147], v[34:37], v[114:117]// 0000000061C0: D3B50072 0DCA4590
	ds_read_b64_tr_b16 a[192:193], v12 offset:14336            // 0000000061C8: DBC63800 C000000C
	ds_read_b64_tr_b16 a[194:195], v12 offset:14592            // 0000000061D0: DBC63900 C200000C
	v_mfma_f32_16x16x32_bf16 v[118:121], a[148:151], v[34:37], v[118:121]// 0000000061D8: D3B50076 0DDA4594
	s_waitcnt vmcnt(10)                                        // 0000000061E0: BF8C0F7A
	s_barrier                                                  // 0000000061E4: BF8A0000
	ds_read_b128 a[72:75], v18                                 // 0000000061E8: DBFE0000 48000012
	ds_read_b128 a[76:79], v18 offset:1024                     // 0000000061F0: DBFE0400 4C000012
	v_mfma_f32_16x16x32_bf16 v[122:125], a[152:155], v[34:37], v[122:125]// 0000000061F8: D3B5007A 0DEA4598
	ds_read_b64_tr_b16 a[196:197], v13 offset:14336            // 000000006200: DBC63800 C400000D
	ds_read_b64_tr_b16 a[198:199], v13 offset:14592            // 000000006208: DBC63900 C600000D
	v_mfma_f32_16x16x32_bf16 v[126:129], a[156:159], v[34:37], v[126:129]// 000000006210: D3B5007E 0DFA459C
	ds_read_b128 a[80:83], v18 offset:2048                     // 000000006218: DBFE0800 50000012
	ds_read_b128 a[84:87], v18 offset:3072                     // 000000006220: DBFE0C00 54000012
	v_mfma_f32_16x16x32_bf16 v[130:133], a[160:163], v[34:37], v[130:133]// 000000006228: D3B50082 0E0A45A0
	ds_read_b64_tr_b16 a[200:201], v12 offset:15360            // 000000006230: DBC63C00 C800000C
	ds_read_b64_tr_b16 a[202:203], v12 offset:15616            // 000000006238: DBC63D00 CA00000C
	v_mfma_f32_16x16x32_bf16 v[134:137], a[164:167], v[34:37], v[134:137]// 000000006240: D3B50086 0E1A45A4
	ds_read_b128 a[88:91], v18 offset:4096                     // 000000006248: DBFE1000 58000012
	ds_read_b128 a[92:95], v18 offset:5120                     // 000000006250: DBFE1400 5C000012
	v_mfma_f32_16x16x32_bf16 v[138:141], a[168:171], v[34:37], v[138:141]// 000000006258: D3B5008A 0E2A45A8
	ds_read_b64_tr_b16 a[204:205], v13 offset:15360            // 000000006260: DBC63C00 CC00000D
	ds_read_b64_tr_b16 a[206:207], v13 offset:15616            // 000000006268: DBC63D00 CE00000D
	v_mfma_f32_16x16x32_bf16 v[142:145], a[172:175], v[34:37], v[142:145]// 000000006270: D3B5008E 0E3A45AC
	ds_read_b128 a[96:99], v18 offset:6144                     // 000000006278: DBFE1800 60000012
	ds_read_b128 a[100:103], v18 offset:7168                   // 000000006280: DBFE1C00 64000012
	v_mfma_f32_16x16x32_bf16 v[146:149], a[176:179], v[34:37], v[146:149]// 000000006288: D3B50092 0E4A45B0
	v_max3_f32 v29, v28, v29, v29                              // 000000006290: D1D3001D 04763B1C
	v_max3_f32 v29, v30, v31, v29                              // 000000006298: D1D3001D 04763F1E
	v_mfma_f32_16x16x32_bf16 v[150:153], a[180:183], v[34:37], v[150:153]// 0000000062A0: D3B50096 0E5A45B4
	ds_read_b128 a[104:107], v18 offset:8192                   // 0000000062A8: DBFE2000 68000012
	ds_read_b128 a[108:111], v18 offset:9216                   // 0000000062B0: DBFE2400 6C000012
	v_mfma_f32_16x16x32_bf16 v[154:157], a[184:187], v[34:37], v[154:157]// 0000000062B8: D3B5009A 0E6A45B8
	v_mov_b32_e32 v28, 0xff800000                              // 0000000062C0: 7E3802FF FF800000
	v_cmp_eq_u32_e64 s[36:37], v28, v2                         // 0000000062C8: D0CA0024 0002051C
	v_mfma_f32_16x16x32_bf16 v[158:161], a[188:191], v[34:37], v[158:161]// 0000000062D0: D3B5009E 0E7A45BC
	ds_read_b128 a[112:115], v18 offset:10240                  // 0000000062D8: DBFE2800 70000012
	ds_read_b128 a[116:119], v18 offset:11264                  // 0000000062E0: DBFE2C00 74000012
	v_mfma_f32_16x16x32_bf16 v[162:165], a[192:195], v[34:37], v[162:165]// 0000000062E8: D3B500A2 0E8A45C0
	v_max_f32_e32 v29, v29, v2                                 // 0000000062F0: 163A051D
	v_sub_f32_e32 v16, v2, v29                                 // 0000000062F4: 04203B02
	v_mfma_f32_16x16x32_bf16 v[166:169], a[196:199], v[34:37], v[166:169]// 0000000062F8: D3B500A6 0E9A45C4
	ds_read_b128 a[120:123], v18 offset:12288                  // 000000006300: DBFE3000 78000012
	ds_read_b128 a[124:127], v18 offset:13312                  // 000000006308: DBFE3400 7C000012
	v_mfma_f32_16x16x32_bf16 v[170:173], a[200:203], v[34:37], v[170:173]// 000000006310: D3B500AA 0EAA45C8
	v_cndmask_b32_e64 v16, v16, 0, s[36:37]                    // 000000006318: D1000010 00910110
	v_mov_b32_e32 v2, v29                                      // 000000006320: 7E04031D
	v_mfma_f32_16x16x32_bf16 v[174:177], a[204:207], v[34:37], v[174:177]// 000000006324: D3B500AE 0EBA45CC
	ds_read_b128 a[128:131], v18 offset:14336                  // 00000000632C: DBFE3800 80000012
	ds_read_b128 a[132:135], v18 offset:15360                  // 000000006334: DBFE3C00 84000012
	ds_read_b128 a[136:139], v18 offset:16384                  // 00000000633C: DBFE4000 88000012
	ds_read_b128 a[140:143], v18 offset:17408                  // 000000006344: DBFE4400 8C000012
	s_waitcnt lgkmcnt(0)                                       // 00000000634C: BF8CC07F
	v_mfma_f32_16x16x32_bf16 v[34:37], a[72:75], a[0:3], 0     // 000000006350: D3B50022 1A020148
	buffer_load_dword v24, v26, s[24:27], 0 offen              // 000000006358: E0501000 8006181A
	v_mul_f32_e32 v29, s5, v29                                 // 000000006360: 0A3A3A05
	s_mov_b32 s56, 0x14000                                     // 000000006364: BEB800FF 00014000
	s_mul_i32 s57, s7, 0x2400                                  // 00000000636C: 9239FF07 00002400
	s_add_u32 m0, s56, s57                                     // 000000006374: 807C3938
	buffer_load_dwordx4 v32, s[20:23], 0 offen lds             // 000000006378: E05D1000 80050020
	s_add_i32 m0, m0, 0x3c0                                    // 000000006380: 817CFF7C 000003C0
	v_mfma_f32_16x16x32_bf16 v[34:37], a[76:79], a[4:7], v[34:37]// 000000006388: D3B50022 1C8A094C
	buffer_load_dwordx4 v32, s[20:23], 0 offen offset:64 lds   // 000000006390: E05D1040 80050020
	s_add_i32 m0, m0, 0x3c0                                    // 000000006398: 817CFF7C 000003C0
	v_mfma_f32_16x16x32_bf16 v[34:37], a[80:83], a[8:11], v[34:37]// 0000000063A0: D3B50022 1C8A1150
	v_mul_f32_e32 v16, s5, v16                                 // 0000000063A8: 0A202005
	v_exp_f32_e32 v16, v16                                     // 0000000063AC: 7E204110
	v_mfma_f32_16x16x32_bf16 v[34:37], a[84:87], a[12:15], v[34:37]// 0000000063B0: D3B50022 1C8A1954
	v_add_u32_e32 v26, s73, v26                                // 0000000063B8: 68343449
	ds_read_b128 a[72:75], v18 offset:18432                    // 0000000063BC: DBFE4800 48000012
	ds_read_b128 a[76:79], v18 offset:19456                    // 0000000063C4: DBFE4C00 4C000012
	v_fma_f32 v42, v42, s5, -v29                               // 0000000063CC: D1CB002A 84740B2A
	v_mfma_f32_16x16x32_bf16 v[34:37], a[88:91], a[16:19], v[34:37]// 0000000063D4: D3B50022 1C8A2158
	ds_read_b128 a[80:83], v18 offset:20480                    // 0000000063DC: DBFE5000 50000012
	ds_read_b128 a[84:87], v18 offset:21504                    // 0000000063E4: DBFE5400 54000012
	v_fma_f32 v43, v43, s5, -v29                               // 0000000063EC: D1CB002B 84740B2B
	v_mfma_f32_16x16x32_bf16 v[34:37], a[92:95], a[20:23], v[34:37]// 0000000063F4: D3B50022 1C8A295C
	buffer_load_dwordx4 v32, s[20:23], 0 offen offset:128 lds  // 0000000063FC: E05D1080 80050020
	s_add_i32 m0, m0, 0x3c0                                    // 000000006404: 817CFF7C 000003C0
	v_mfma_f32_16x16x32_bf16 v[34:37], a[96:99], a[24:27], v[34:37]// 00000000640C: D3B50022 1C8A3160
	v_fma_f32 v44, v44, s5, -v29                               // 000000006414: D1CB002C 84740B2C
	v_fma_f32 v45, v45, s5, -v29                               // 00000000641C: D1CB002D 84740B2D
	v_mfma_f32_16x16x32_bf16 v[34:37], a[100:103], a[28:31], v[34:37]// 000000006424: D3B50022 1C8A3964
	ds_read_b128 a[88:91], v18 offset:22528                    // 00000000642C: DBFE5800 58000012
	ds_read_b128 a[92:95], v18 offset:23552                    // 000000006434: DBFE5C00 5C000012
	v_fma_f32 v46, v46, s5, -v29                               // 00000000643C: D1CB002E 84740B2E
	v_mfma_f32_16x16x32_bf16 v[34:37], a[104:107], a[32:35], v[34:37]// 000000006444: D3B50022 1C8A4168
	ds_read_b128 a[96:99], v18 offset:24576                    // 00000000644C: DBFE6000 60000012
	ds_read_b128 a[100:103], v18 offset:25600                  // 000000006454: DBFE6400 64000012
	v_fma_f32 v47, v47, s5, -v29                               // 00000000645C: D1CB002F 84740B2F
	v_mfma_f32_16x16x32_bf16 v[34:37], a[108:111], a[36:39], v[34:37]// 000000006464: D3B50022 1C8A496C
	buffer_load_dwordx4 v32, s[20:23], 0 offen offset:192 lds  // 00000000646C: E05D10C0 80050020
	s_add_i32 m0, m0, 0x3c0                                    // 000000006474: 817CFF7C 000003C0
	v_mfma_f32_16x16x32_bf16 v[34:37], a[112:115], a[40:43], v[34:37]// 00000000647C: D3B50022 1C8A5170
	v_fma_f32 v48, v48, s5, -v29                               // 000000006484: D1CB0030 84740B30
	v_fma_f32 v49, v49, s5, -v29                               // 00000000648C: D1CB0031 84740B31
	v_mfma_f32_16x16x32_bf16 v[34:37], a[116:119], a[44:47], v[34:37]// 000000006494: D3B50022 1C8A5974
	v_exp_f32_e32 v42, v42                                     // 00000000649C: 7E54412A
	v_mfma_f32_16x16x32_bf16 v[34:37], a[120:123], a[48:51], v[34:37]// 0000000064A0: D3B50022 1C8A6178
	ds_read_b128 a[104:107], v18 offset:26624                  // 0000000064A8: DBFE6800 68000012
	ds_read_b128 a[108:111], v18 offset:27648                  // 0000000064B0: DBFE6C00 6C000012
	v_exp_f32_e32 v43, v43                                     // 0000000064B8: 7E56412B
	v_mfma_f32_16x16x32_bf16 v[34:37], a[124:127], a[52:55], v[34:37]// 0000000064BC: D3B50022 1C8A697C
	buffer_load_dwordx4 v32, s[20:23], 0 offen offset:256 lds  // 0000000064C4: E05D1100 80050020
	s_add_i32 m0, m0, 0x3c0                                    // 0000000064CC: 817CFF7C 000003C0
	v_mfma_f32_16x16x32_bf16 v[34:37], a[128:131], a[56:59], v[34:37]// 0000000064D4: D3B50022 1C8A7180
	v_exp_f32_e32 v44, v44                                     // 0000000064DC: 7E58412C
	v_mfma_f32_16x16x32_bf16 v[34:37], a[132:135], a[60:63], v[34:37]// 0000000064E0: D3B50022 1C8A7984
	ds_read_b128 a[112:115], v18 offset:28672                  // 0000000064E8: DBFE7000 70000012
	ds_read_b128 a[116:119], v18 offset:29696                  // 0000000064F0: DBFE7400 74000012
	v_exp_f32_e32 v45, v45                                     // 0000000064F8: 7E5A412D
	v_mfma_f32_16x16x32_bf16 v[34:37], a[136:139], a[64:67], v[34:37]// 0000000064FC: D3B50022 1C8A8188
	ds_read_b128 a[120:123], v18 offset:30720                  // 000000006504: DBFE7800 78000012
	ds_read_b128 a[124:127], v18 offset:31744                  // 00000000650C: DBFE7C00 7C000012
	v_exp_f32_e32 v46, v46                                     // 000000006514: 7E5C412E
	v_mfma_f32_16x16x32_bf16 v[34:37], a[140:143], a[68:71], v[34:37]// 000000006518: D3B50022 1C8A898C
	ds_read_b128 a[128:131], v18 offset:32768                  // 000000006520: DBFE8000 80000012
	ds_read_b128 a[132:135], v18 offset:33792                  // 000000006528: DBFE8400 84000012
	v_exp_f32_e32 v47, v47                                     // 000000006530: 7E5E412F
	ds_read_b128 a[136:139], v18 offset:34816                  // 000000006534: DBFE8800 88000012
	ds_read_b128 a[140:143], v18 offset:35840                  // 00000000653C: DBFE8C00 8C000012
	v_exp_f32_e32 v48, v48                                     // 000000006544: 7E604130
	v_exp_f32_e32 v49, v49                                     // 000000006548: 7E624131
	v_mul_f32_e32 v4, v16, v4                                  // 00000000654C: 0A080910
	v_mov_b32_e32 v28, v42                                     // 000000006550: 7E38032A
	v_add_f32_e32 v28, v43, v28                                // 000000006554: 0238392B
	v_add_f32_e32 v28, v44, v28                                // 000000006558: 0238392C
	v_add_f32_e32 v28, v45, v28                                // 00000000655C: 0238392D
	v_add_f32_e32 v28, v46, v28                                // 000000006560: 0238392E
	v_add_f32_e32 v28, v47, v28                                // 000000006564: 0238392F
	v_add_f32_e32 v28, v48, v28                                // 000000006568: 02383930
	v_add_f32_e32 v28, v49, v28                                // 00000000656C: 02383931
	v_add_f32_e32 v4, v28, v4                                  // 000000006570: 0208091C
	v_cvt_pk_bf16_f32 v42, v42, v43                            // 000000006574: D268002A 0002572A
	v_cvt_pk_bf16_f32 v43, v44, v45                            // 00000000657C: D268002B 00025B2C
	v_cvt_pk_bf16_f32 v44, v46, v47                            // 000000006584: D268002C 00025F2E
	v_cvt_pk_bf16_f32 v45, v48, v49                            // 00000000658C: D268002D 00026330
	s_nop 0                                                    // 000000006594: BF800000
	v_permlane32_swap_b32_e32 v42, v44                         // 000000006598: 7E54B52C
	v_permlane32_swap_b32_e32 v43, v45                         // 00000000659C: 7E56B52D
	s_nop 0                                                    // 0000000065A0: BF800000
	v_permlane16_swap_b32_e32 v42, v44                         // 0000000065A4: 7E54B32C
	v_permlane16_swap_b32_e32 v43, v45                         // 0000000065A8: 7E56B32D
	s_waitcnt lgkmcnt(0)                                       // 0000000065AC: BF8CC07F
	v_mfma_f32_16x16x32_bf16 v[38:41], a[72:75], a[0:3], 0     // 0000000065B0: D3B50026 1A020148
	v_mul_f32_e32 v50, v16, v50                                // 0000000065B8: 0A646510
	v_mul_f32_e32 v51, v16, v51                                // 0000000065BC: 0A666710
	ds_read_b64_tr_b16 a[144:145], v14                         // 0000000065C0: DBC60000 9000000E
	ds_read_b64_tr_b16 a[146:147], v14 offset:256              // 0000000065C8: DBC60100 9200000E
	v_mfma_f32_16x16x32_bf16 v[38:41], a[76:79], a[4:7], v[38:41]// 0000000065D0: D3B50026 1C9A094C
	buffer_load_dwordx4 v32, s[20:23], 0 offen offset:320 lds  // 0000000065D8: E05D1140 80050020
	s_add_i32 m0, m0, 0x3c0                                    // 0000000065E0: 817CFF7C 000003C0
	v_mul_f32_e32 v52, v16, v52                                // 0000000065E8: 0A686910
	v_mul_f32_e32 v53, v16, v53                                // 0000000065EC: 0A6A6B10
	v_mfma_f32_16x16x32_bf16 v[38:41], a[80:83], a[8:11], v[38:41]// 0000000065F0: D3B50026 1C9A1150
	v_mul_f32_e32 v54, v16, v54                                // 0000000065F8: 0A6C6D10
	v_mul_f32_e32 v55, v16, v55                                // 0000000065FC: 0A6E6F10
	ds_read_b64_tr_b16 a[148:149], v15                         // 000000006600: DBC60000 9400000F
	ds_read_b64_tr_b16 a[150:151], v15 offset:256              // 000000006608: DBC60100 9600000F
	v_mfma_f32_16x16x32_bf16 v[38:41], a[84:87], a[12:15], v[38:41]// 000000006610: D3B50026 1C9A1954
	v_mul_f32_e32 v56, v16, v56                                // 000000006618: 0A707110
	v_mul_f32_e32 v57, v16, v57                                // 00000000661C: 0A727310
	ds_read_b64_tr_b16 a[152:153], v14 offset:1024             // 000000006620: DBC60400 9800000E
	ds_read_b64_tr_b16 a[154:155], v14 offset:1280             // 000000006628: DBC60500 9A00000E
	v_mfma_f32_16x16x32_bf16 v[38:41], a[88:91], a[16:19], v[38:41]// 000000006630: D3B50026 1C9A2158
	v_mul_f32_e32 v58, v16, v58                                // 000000006638: 0A747510
	v_mul_f32_e32 v59, v16, v59                                // 00000000663C: 0A767710
	ds_read_b64_tr_b16 a[156:157], v15 offset:1024             // 000000006640: DBC60400 9C00000F
	ds_read_b64_tr_b16 a[158:159], v15 offset:1280             // 000000006648: DBC60500 9E00000F
	v_mfma_f32_16x16x32_bf16 v[38:41], a[92:95], a[20:23], v[38:41]// 000000006650: D3B50026 1C9A295C
	v_mul_f32_e32 v60, v16, v60                                // 000000006658: 0A787910
	v_mul_f32_e32 v61, v16, v61                                // 00000000665C: 0A7A7B10
	ds_read_b64_tr_b16 a[160:161], v14 offset:2048             // 000000006660: DBC60800 A000000E
	ds_read_b64_tr_b16 a[162:163], v14 offset:2304             // 000000006668: DBC60900 A200000E
	v_mfma_f32_16x16x32_bf16 v[38:41], a[96:99], a[24:27], v[38:41]// 000000006670: D3B50026 1C9A3160
	v_mul_f32_e32 v62, v16, v62                                // 000000006678: 0A7C7D10
	v_mul_f32_e32 v63, v16, v63                                // 00000000667C: 0A7E7F10
	ds_read_b64_tr_b16 a[164:165], v15 offset:2048             // 000000006680: DBC60800 A400000F
	ds_read_b64_tr_b16 a[166:167], v15 offset:2304             // 000000006688: DBC60900 A600000F
	v_mfma_f32_16x16x32_bf16 v[38:41], a[100:103], a[28:31], v[38:41]// 000000006690: D3B50026 1C9A3964
	buffer_load_dwordx4 v32, s[20:23], 0 offen offset:384 lds  // 000000006698: E05D1180 80050020
	s_add_i32 m0, m0, 0x3c0                                    // 0000000066A0: 817CFF7C 000003C0
	v_mfma_f32_16x16x32_bf16 v[38:41], a[104:107], a[32:35], v[38:41]// 0000000066A8: D3B50026 1C9A4168
	v_mul_f32_e32 v64, v16, v64                                // 0000000066B0: 0A808110
	v_mul_f32_e32 v65, v16, v65                                // 0000000066B4: 0A828310
	ds_read_b64_tr_b16 a[168:169], v14 offset:3072             // 0000000066B8: DBC60C00 A800000E
	ds_read_b64_tr_b16 a[170:171], v14 offset:3328             // 0000000066C0: DBC60D00 AA00000E
	v_mfma_f32_16x16x32_bf16 v[38:41], a[108:111], a[36:39], v[38:41]// 0000000066C8: D3B50026 1C9A496C
	v_mul_f32_e32 v66, v16, v66                                // 0000000066D0: 0A848510
	v_mul_f32_e32 v67, v16, v67                                // 0000000066D4: 0A868710
	ds_read_b64_tr_b16 a[172:173], v15 offset:3072             // 0000000066D8: DBC60C00 AC00000F
	ds_read_b64_tr_b16 a[174:175], v15 offset:3328             // 0000000066E0: DBC60D00 AE00000F
	v_mfma_f32_16x16x32_bf16 v[38:41], a[112:115], a[40:43], v[38:41]// 0000000066E8: D3B50026 1C9A5170
	v_mul_f32_e32 v68, v16, v68                                // 0000000066F0: 0A888910
	v_mul_f32_e32 v69, v16, v69                                // 0000000066F4: 0A8A8B10
	ds_read_b64_tr_b16 a[176:177], v14 offset:4096             // 0000000066F8: DBC61000 B000000E
	ds_read_b64_tr_b16 a[178:179], v14 offset:4352             // 000000006700: DBC61100 B200000E
	v_mfma_f32_16x16x32_bf16 v[38:41], a[116:119], a[44:47], v[38:41]// 000000006708: D3B50026 1C9A5974
	buffer_load_dwordx4 v32, s[20:23], 0 offen offset:448 lds  // 000000006710: E05D11C0 80050020
	s_add_i32 m0, m0, 0x3c0                                    // 000000006718: 817CFF7C 000003C0
	v_mul_f32_e32 v70, v16, v70                                // 000000006720: 0A8C8D10
	v_mul_f32_e32 v71, v16, v71                                // 000000006724: 0A8E8F10
	v_mfma_f32_16x16x32_bf16 v[38:41], a[120:123], a[48:51], v[38:41]// 000000006728: D3B50026 1C9A6178
	v_mul_f32_e32 v72, v16, v72                                // 000000006730: 0A909110
	v_mul_f32_e32 v73, v16, v73                                // 000000006734: 0A929310
	ds_read_b64_tr_b16 a[180:181], v15 offset:4096             // 000000006738: DBC61000 B400000F
	ds_read_b64_tr_b16 a[182:183], v15 offset:4352             // 000000006740: DBC61100 B600000F
	v_mfma_f32_16x16x32_bf16 v[38:41], a[124:127], a[52:55], v[38:41]// 000000006748: D3B50026 1C9A697C
	v_mul_f32_e32 v74, v16, v74                                // 000000006750: 0A949510
	v_mul_f32_e32 v75, v16, v75                                // 000000006754: 0A969710
	ds_read_b64_tr_b16 a[184:185], v14 offset:5120             // 000000006758: DBC61400 B800000E
	ds_read_b64_tr_b16 a[186:187], v14 offset:5376             // 000000006760: DBC61500 BA00000E
	v_mfma_f32_16x16x32_bf16 v[38:41], a[128:131], a[56:59], v[38:41]// 000000006768: D3B50026 1C9A7180
	v_mul_f32_e32 v76, v16, v76                                // 000000006770: 0A989910
	v_mul_f32_e32 v77, v16, v77                                // 000000006774: 0A9A9B10
	ds_read_b64_tr_b16 a[188:189], v15 offset:5120             // 000000006778: DBC61400 BC00000F
	ds_read_b64_tr_b16 a[190:191], v15 offset:5376             // 000000006780: DBC61500 BE00000F
	v_mfma_f32_16x16x32_bf16 v[38:41], a[132:135], a[60:63], v[38:41]// 000000006788: D3B50026 1C9A7984
	buffer_load_dwordx4 v32, s[20:23], 0 offen offset:512 lds  // 000000006790: E05D1200 80050020
	s_add_i32 m0, m0, 0x3c0                                    // 000000006798: 817CFF7C 000003C0
	v_mfma_f32_16x16x32_bf16 v[38:41], a[136:139], a[64:67], v[38:41]// 0000000067A0: D3B50026 1C9A8188
	v_mul_f32_e32 v78, v16, v78                                // 0000000067A8: 0A9C9D10
	v_mul_f32_e32 v79, v16, v79                                // 0000000067AC: 0A9E9F10
	ds_read_b64_tr_b16 a[192:193], v14 offset:6144             // 0000000067B0: DBC61800 C000000E
	ds_read_b64_tr_b16 a[194:195], v14 offset:6400             // 0000000067B8: DBC61900 C200000E
	ds_read_b64_tr_b16 a[196:197], v15 offset:6144             // 0000000067C0: DBC61800 C400000F
	ds_read_b64_tr_b16 a[198:199], v15 offset:6400             // 0000000067C8: DBC61900 C600000F
	ds_read_b64_tr_b16 a[200:201], v14 offset:7168             // 0000000067D0: DBC61C00 C800000E
	ds_read_b64_tr_b16 a[202:203], v14 offset:7424             // 0000000067D8: DBC61D00 CA00000E
	ds_read_b64_tr_b16 a[204:205], v15 offset:7168             // 0000000067E0: DBC61C00 CC00000F
	ds_read_b64_tr_b16 a[206:207], v15 offset:7424             // 0000000067E8: DBC61D00 CE00000F
	v_mov_b32_e32 v30, v16                                     // 0000000067F0: 7E3C0310
	v_mov_b32_e32 v31, v16                                     // 0000000067F4: 7E3E0310
	v_pk_mul_f32 v[80:81], v[30:31], v[80:81]                  // 0000000067F8: D3B14050 1802A11E
	v_pk_mul_f32 v[82:83], v[30:31], v[82:83]                  // 000000006800: D3B14052 1802A51E
	v_pk_mul_f32 v[84:85], v[30:31], v[84:85]                  // 000000006808: D3B14054 1802A91E
	v_pk_mul_f32 v[86:87], v[30:31], v[86:87]                  // 000000006810: D3B14056 1802AD1E
	v_pk_mul_f32 v[88:89], v[30:31], v[88:89]                  // 000000006818: D3B14058 1802B11E
	v_pk_mul_f32 v[90:91], v[30:31], v[90:91]                  // 000000006820: D3B1405A 1802B51E
	v_pk_mul_f32 v[92:93], v[30:31], v[92:93]                  // 000000006828: D3B1405C 1802B91E
	v_pk_mul_f32 v[94:95], v[30:31], v[94:95]                  // 000000006830: D3B1405E 1802BD1E
	v_pk_mul_f32 v[96:97], v[30:31], v[96:97]                  // 000000006838: D3B14060 1802C11E
	v_pk_mul_f32 v[98:99], v[30:31], v[98:99]                  // 000000006840: D3B14062 1802C51E
	v_pk_mul_f32 v[100:101], v[30:31], v[100:101]              // 000000006848: D3B14064 1802C91E
	v_pk_mul_f32 v[102:103], v[30:31], v[102:103]              // 000000006850: D3B14066 1802CD1E
	v_pk_mul_f32 v[104:105], v[30:31], v[104:105]              // 000000006858: D3B14068 1802D11E
	v_pk_mul_f32 v[106:107], v[30:31], v[106:107]              // 000000006860: D3B1406A 1802D51E
	v_pk_mul_f32 v[108:109], v[30:31], v[108:109]              // 000000006868: D3B1406C 1802D91E
	v_pk_mul_f32 v[110:111], v[30:31], v[110:111]              // 000000006870: D3B1406E 1802DD1E
	v_pk_mul_f32 v[112:113], v[30:31], v[112:113]              // 000000006878: D3B14070 1802E11E
	v_pk_mul_f32 v[114:115], v[30:31], v[114:115]              // 000000006880: D3B14072 1802E51E
	v_pk_mul_f32 v[116:117], v[30:31], v[116:117]              // 000000006888: D3B14074 1802E91E
	v_pk_mul_f32 v[118:119], v[30:31], v[118:119]              // 000000006890: D3B14076 1802ED1E
	v_pk_mul_f32 v[120:121], v[30:31], v[120:121]              // 000000006898: D3B14078 1802F11E
	v_pk_mul_f32 v[122:123], v[30:31], v[122:123]              // 0000000068A0: D3B1407A 1802F51E
	v_pk_mul_f32 v[124:125], v[30:31], v[124:125]              // 0000000068A8: D3B1407C 1802F91E
	v_pk_mul_f32 v[126:127], v[30:31], v[126:127]              // 0000000068B0: D3B1407E 1802FD1E
	v_pk_mul_f32 v[128:129], v[30:31], v[128:129]              // 0000000068B8: D3B14080 1803011E
	v_pk_mul_f32 v[130:131], v[30:31], v[130:131]              // 0000000068C0: D3B14082 1803051E
	v_pk_mul_f32 v[132:133], v[30:31], v[132:133]              // 0000000068C8: D3B14084 1803091E
	v_pk_mul_f32 v[134:135], v[30:31], v[134:135]              // 0000000068D0: D3B14086 18030D1E
	v_pk_mul_f32 v[136:137], v[30:31], v[136:137]              // 0000000068D8: D3B14088 1803111E
	v_pk_mul_f32 v[138:139], v[30:31], v[138:139]              // 0000000068E0: D3B1408A 1803151E
	v_pk_mul_f32 v[140:141], v[30:31], v[140:141]              // 0000000068E8: D3B1408C 1803191E
	v_pk_mul_f32 v[142:143], v[30:31], v[142:143]              // 0000000068F0: D3B1408E 18031D1E
	v_pk_mul_f32 v[144:145], v[30:31], v[144:145]              // 0000000068F8: D3B14090 1803211E
	v_pk_mul_f32 v[146:147], v[30:31], v[146:147]              // 000000006900: D3B14092 1803251E
	v_pk_mul_f32 v[148:149], v[30:31], v[148:149]              // 000000006908: D3B14094 1803291E
	v_pk_mul_f32 v[150:151], v[30:31], v[150:151]              // 000000006910: D3B14096 18032D1E
	v_pk_mul_f32 v[152:153], v[30:31], v[152:153]              // 000000006918: D3B14098 1803311E
	v_pk_mul_f32 v[154:155], v[30:31], v[154:155]              // 000000006920: D3B1409A 1803351E
	v_pk_mul_f32 v[156:157], v[30:31], v[156:157]              // 000000006928: D3B1409C 1803391E
	v_pk_mul_f32 v[158:159], v[30:31], v[158:159]              // 000000006930: D3B1409E 18033D1E
	v_pk_mul_f32 v[160:161], v[30:31], v[160:161]              // 000000006938: D3B140A0 1803411E
	v_pk_mul_f32 v[162:163], v[30:31], v[162:163]              // 000000006940: D3B140A2 1803451E
	v_pk_mul_f32 v[164:165], v[30:31], v[164:165]              // 000000006948: D3B140A4 1803491E
	v_pk_mul_f32 v[166:167], v[30:31], v[166:167]              // 000000006950: D3B140A6 18034D1E
	v_pk_mul_f32 v[168:169], v[30:31], v[168:169]              // 000000006958: D3B140A8 1803511E
	v_pk_mul_f32 v[170:171], v[30:31], v[170:171]              // 000000006960: D3B140AA 1803551E
	v_pk_mul_f32 v[172:173], v[30:31], v[172:173]              // 000000006968: D3B140AC 1803591E
	v_pk_mul_f32 v[174:175], v[30:31], v[174:175]              // 000000006970: D3B140AE 18035D1E
	v_pk_mul_f32 v[176:177], v[30:31], v[176:177]              // 000000006978: D3B140B0 1803611E
	v_mfma_f32_16x16x32_bf16 v[38:41], a[140:143], a[68:71], v[38:41]// 000000006980: D3B50026 1C9A898C
	s_addk_i32 s70, 0x1                                        // 000000006988: B7460001
	s_cmp_lt_i32 s70, s71                                      // 00000000698C: BF044746
	s_cbranch_scc0 label_3B18                                  // 000000006990: BF84FDA1
	s_waitcnt lgkmcnt(0)                                       // 000000006994: BF8CC07F
	v_mul_u32_u24_e64 v32, v23, s68                            // 000000006998: D1080020 00008917
	v_add_u32_e32 v32, v32, v1                                 // 0000000069A0: 68400320
	v_mfma_f32_16x16x32_bf16 v[50:53], a[144:147], v[42:45], v[50:53]// 0000000069A4: D3B50032 0CCA5590
	v_mov_b32_e32 v29, v34                                     // 0000000069AC: 7E3A0322
	v_max3_f32 v29, v34, v35, v29                              // 0000000069B0: D1D3001D 04764722
	v_mfma_f32_16x16x32_bf16 v[54:57], a[148:151], v[42:45], v[54:57]// 0000000069B8: D3B50036 0CDA5594
	ds_read_b64_tr_b16 a[144:145], v14 offset:8192             // 0000000069C0: DBC62000 9000000E
	ds_read_b64_tr_b16 a[146:147], v14 offset:8448             // 0000000069C8: DBC62100 9200000E
	v_mfma_f32_16x16x32_bf16 v[58:61], a[152:155], v[42:45], v[58:61]// 0000000069D0: D3B5003A 0CEA5598
	v_max3_f32 v29, v36, v37, v29                              // 0000000069D8: D1D3001D 04764B24
	v_max3_f32 v29, v38, v39, v29                              // 0000000069E0: D1D3001D 04764F26
	v_mfma_f32_16x16x32_bf16 v[62:65], a[156:159], v[42:45], v[62:65]// 0000000069E8: D3B5003E 0CFA559C
	ds_read_b64_tr_b16 a[148:149], v15 offset:8192             // 0000000069F0: DBC62000 9400000F
	ds_read_b64_tr_b16 a[150:151], v15 offset:8448             // 0000000069F8: DBC62100 9600000F
	v_mfma_f32_16x16x32_bf16 v[66:69], a[160:163], v[42:45], v[66:69]// 000000006A00: D3B50042 0D0A55A0
	v_max3_f32 v29, v40, v41, v29                              // 000000006A08: D1D3001D 04765328
	v_mov_b32_e32 v28, v29                                     // 000000006A10: 7E38031D
	v_mfma_f32_16x16x32_bf16 v[70:73], a[164:167], v[42:45], v[70:73]// 000000006A14: D3B50046 0D1A55A4
	ds_read_b64_tr_b16 a[152:153], v14 offset:9216             // 000000006A1C: DBC62400 9800000E
	ds_read_b64_tr_b16 a[154:155], v14 offset:9472             // 000000006A24: DBC62500 9A00000E
	v_mfma_f32_16x16x32_bf16 v[74:77], a[168:171], v[42:45], v[74:77]// 000000006A2C: D3B5004A 0D2A55A8
	v_mov_b32_e32 v29, v29                                     // 000000006A34: 7E3A031D
	s_nop 1                                                    // 000000006A38: BF800001
	v_mfma_f32_16x16x32_bf16 v[78:81], a[172:175], v[42:45], v[78:81]// 000000006A3C: D3B5004E 0D3A55AC
	ds_read_b64_tr_b16 a[156:157], v15 offset:9216             // 000000006A44: DBC62400 9C00000F
	ds_read_b64_tr_b16 a[158:159], v15 offset:9472             // 000000006A4C: DBC62500 9E00000F
	v_mfma_f32_16x16x32_bf16 v[82:85], a[176:179], v[42:45], v[82:85]// 000000006A54: D3B50052 0D4A55B0
	v_permlane16_swap_b32_e32 v28, v29                         // 000000006A5C: 7E38B31D
	v_mfma_f32_16x16x32_bf16 v[86:89], a[180:183], v[42:45], v[86:89]// 000000006A60: D3B50056 0D5A55B4
	ds_read_b64_tr_b16 a[160:161], v14 offset:10240            // 000000006A68: DBC62800 A000000E
	ds_read_b64_tr_b16 a[162:163], v14 offset:10496            // 000000006A70: DBC62900 A200000E
	v_mfma_f32_16x16x32_bf16 v[90:93], a[184:187], v[42:45], v[90:93]// 000000006A78: D3B5005A 0D6A55B8
	v_mov_b32_e32 v31, v28                                     // 000000006A80: 7E3E031C
	v_mov_b32_e32 v30, v29                                     // 000000006A84: 7E3C031D
	v_mfma_f32_16x16x32_bf16 v[94:97], a[188:191], v[42:45], v[94:97]// 000000006A88: D3B5005E 0D7A55BC
	ds_read_b64_tr_b16 a[164:165], v15 offset:10240            // 000000006A90: DBC62800 A400000F
	ds_read_b64_tr_b16 a[166:167], v15 offset:10496            // 000000006A98: DBC62900 A600000F
	v_mfma_f32_16x16x32_bf16 v[98:101], a[192:195], v[42:45], v[98:101]// 000000006AA0: D3B50062 0D8A55C0
	s_nop 1                                                    // 000000006AA8: BF800001
	v_permlane32_swap_b32_e32 v28, v29                         // 000000006AAC: 7E38B51D
	v_mfma_f32_16x16x32_bf16 v[102:105], a[196:199], v[42:45], v[102:105]// 000000006AB0: D3B50066 0D9A55C4
	ds_read_b64_tr_b16 a[168:169], v14 offset:11264            // 000000006AB8: DBC62C00 A800000E
	ds_read_b64_tr_b16 a[170:171], v14 offset:11520            // 000000006AC0: DBC62D00 AA00000E
	v_mfma_f32_16x16x32_bf16 v[106:109], a[200:203], v[42:45], v[106:109]// 000000006AC8: D3B5006A 0DAA55C8
	v_permlane32_swap_b32_e32 v30, v31                         // 000000006AD0: 7E3CB51F
	v_mfma_f32_16x16x32_bf16 v[110:113], a[204:207], v[42:45], v[110:113]// 000000006AD4: D3B5006E 0DBA55CC
	ds_read_b64_tr_b16 a[172:173], v15 offset:11264            // 000000006ADC: DBC62C00 AC00000F
	ds_read_b64_tr_b16 a[174:175], v15 offset:11520            // 000000006AE4: DBC62D00 AE00000F
	ds_read_b64_tr_b16 a[176:177], v14 offset:12288            // 000000006AEC: DBC63000 B000000E
	ds_read_b64_tr_b16 a[178:179], v14 offset:12544            // 000000006AF4: DBC63100 B200000E
	ds_read_b64_tr_b16 a[180:181], v15 offset:12288            // 000000006AFC: DBC63000 B400000F
	ds_read_b64_tr_b16 a[182:183], v15 offset:12544            // 000000006B04: DBC63100 B600000F
	ds_read_b64_tr_b16 a[184:185], v14 offset:13312            // 000000006B0C: DBC63400 B800000E
	ds_read_b64_tr_b16 a[186:187], v14 offset:13568            // 000000006B14: DBC63500 BA00000E
	ds_read_b64_tr_b16 a[188:189], v15 offset:13312            // 000000006B1C: DBC63400 BC00000F
	ds_read_b64_tr_b16 a[190:191], v15 offset:13568            // 000000006B24: DBC63500 BE00000F
	s_waitcnt lgkmcnt(0)                                       // 000000006B2C: BF8CC07F
	v_mfma_f32_16x16x32_bf16 v[114:117], a[144:147], v[42:45], v[114:117]// 000000006B30: D3B50072 0DCA5590
	ds_read_b64_tr_b16 a[192:193], v14 offset:14336            // 000000006B38: DBC63800 C000000E
	ds_read_b64_tr_b16 a[194:195], v14 offset:14592            // 000000006B40: DBC63900 C200000E
	v_mfma_f32_16x16x32_bf16 v[118:121], a[148:151], v[42:45], v[118:121]// 000000006B48: D3B50076 0DDA5594
	s_waitcnt vmcnt(10)                                        // 000000006B50: BF8C0F7A
	s_barrier                                                  // 000000006B54: BF8A0000
	ds_read_b128 a[72:75], v19                                 // 000000006B58: DBFE0000 48000013
	ds_read_b128 a[76:79], v19 offset:1024                     // 000000006B60: DBFE0400 4C000013
	v_mfma_f32_16x16x32_bf16 v[122:125], a[152:155], v[42:45], v[122:125]// 000000006B68: D3B5007A 0DEA5598
	ds_read_b64_tr_b16 a[196:197], v15 offset:14336            // 000000006B70: DBC63800 C400000F
	ds_read_b64_tr_b16 a[198:199], v15 offset:14592            // 000000006B78: DBC63900 C600000F
	v_mfma_f32_16x16x32_bf16 v[126:129], a[156:159], v[42:45], v[126:129]// 000000006B80: D3B5007E 0DFA559C
	ds_read_b128 a[80:83], v19 offset:2048                     // 000000006B88: DBFE0800 50000013
	ds_read_b128 a[84:87], v19 offset:3072                     // 000000006B90: DBFE0C00 54000013
	v_mfma_f32_16x16x32_bf16 v[130:133], a[160:163], v[42:45], v[130:133]// 000000006B98: D3B50082 0E0A55A0
	ds_read_b64_tr_b16 a[200:201], v14 offset:15360            // 000000006BA0: DBC63C00 C800000E
	ds_read_b64_tr_b16 a[202:203], v14 offset:15616            // 000000006BA8: DBC63D00 CA00000E
	v_mfma_f32_16x16x32_bf16 v[134:137], a[164:167], v[42:45], v[134:137]// 000000006BB0: D3B50086 0E1A55A4
	ds_read_b128 a[88:91], v19 offset:4096                     // 000000006BB8: DBFE1000 58000013
	ds_read_b128 a[92:95], v19 offset:5120                     // 000000006BC0: DBFE1400 5C000013
	v_mfma_f32_16x16x32_bf16 v[138:141], a[168:171], v[42:45], v[138:141]// 000000006BC8: D3B5008A 0E2A55A8
	ds_read_b64_tr_b16 a[204:205], v15 offset:15360            // 000000006BD0: DBC63C00 CC00000F
	ds_read_b64_tr_b16 a[206:207], v15 offset:15616            // 000000006BD8: DBC63D00 CE00000F
	v_mfma_f32_16x16x32_bf16 v[142:145], a[172:175], v[42:45], v[142:145]// 000000006BE0: D3B5008E 0E3A55AC
	ds_read_b128 a[96:99], v19 offset:6144                     // 000000006BE8: DBFE1800 60000013
	ds_read_b128 a[100:103], v19 offset:7168                   // 000000006BF0: DBFE1C00 64000013
	v_mfma_f32_16x16x32_bf16 v[146:149], a[176:179], v[42:45], v[146:149]// 000000006BF8: D3B50092 0E4A55B0
	v_max3_f32 v29, v28, v29, v29                              // 000000006C00: D1D3001D 04763B1C
	v_max3_f32 v29, v30, v31, v29                              // 000000006C08: D1D3001D 04763F1E
	v_mfma_f32_16x16x32_bf16 v[150:153], a[180:183], v[42:45], v[150:153]// 000000006C10: D3B50096 0E5A55B4
	ds_read_b128 a[104:107], v19 offset:8192                   // 000000006C18: DBFE2000 68000013
	ds_read_b128 a[108:111], v19 offset:9216                   // 000000006C20: DBFE2400 6C000013
	v_mfma_f32_16x16x32_bf16 v[154:157], a[184:187], v[42:45], v[154:157]// 000000006C28: D3B5009A 0E6A55B8
	v_mov_b32_e32 v28, 0xff800000                              // 000000006C30: 7E3802FF FF800000
	v_cmp_eq_u32_e64 s[36:37], v28, v2                         // 000000006C38: D0CA0024 0002051C
	v_mfma_f32_16x16x32_bf16 v[158:161], a[188:191], v[42:45], v[158:161]// 000000006C40: D3B5009E 0E7A55BC
	ds_read_b128 a[112:115], v19 offset:10240                  // 000000006C48: DBFE2800 70000013
	ds_read_b128 a[116:119], v19 offset:11264                  // 000000006C50: DBFE2C00 74000013
	v_mfma_f32_16x16x32_bf16 v[162:165], a[192:195], v[42:45], v[162:165]// 000000006C58: D3B500A2 0E8A55C0
	v_max_f32_e32 v29, v29, v2                                 // 000000006C60: 163A051D
	v_sub_f32_e32 v16, v2, v29                                 // 000000006C64: 04203B02
	v_mfma_f32_16x16x32_bf16 v[166:169], a[196:199], v[42:45], v[166:169]// 000000006C68: D3B500A6 0E9A55C4
	ds_read_b128 a[120:123], v19 offset:12288                  // 000000006C70: DBFE3000 78000013
	ds_read_b128 a[124:127], v19 offset:13312                  // 000000006C78: DBFE3400 7C000013
	v_mfma_f32_16x16x32_bf16 v[170:173], a[200:203], v[42:45], v[170:173]// 000000006C80: D3B500AA 0EAA55C8
	v_cndmask_b32_e64 v16, v16, 0, s[36:37]                    // 000000006C88: D1000010 00910110
	v_mov_b32_e32 v2, v29                                      // 000000006C90: 7E04031D
	v_mfma_f32_16x16x32_bf16 v[174:177], a[204:207], v[42:45], v[174:177]// 000000006C94: D3B500AE 0EBA55CC
	ds_read_b128 a[128:131], v19 offset:14336                  // 000000006C9C: DBFE3800 80000013
	ds_read_b128 a[132:135], v19 offset:15360                  // 000000006CA4: DBFE3C00 84000013
	ds_read_b128 a[136:139], v19 offset:16384                  // 000000006CAC: DBFE4000 88000013
	ds_read_b128 a[140:143], v19 offset:17408                  // 000000006CB4: DBFE4400 8C000013
	s_waitcnt lgkmcnt(0)                                       // 000000006CBC: BF8CC07F
	v_mfma_f32_16x16x32_bf16 v[42:45], a[72:75], a[0:3], 0     // 000000006CC0: D3B5002A 1A020148
	buffer_load_dword v25, v26, s[24:27], 0 offen              // 000000006CC8: E0501000 8006191A
	v_mul_f32_e32 v29, s5, v29                                 // 000000006CD0: 0A3A3A05
	s_mov_b32 s56, 0x1d000                                     // 000000006CD4: BEB800FF 0001D000
	s_mul_i32 s57, s7, 0x2400                                  // 000000006CDC: 9239FF07 00002400
	s_add_u32 m0, s56, s57                                     // 000000006CE4: 807C3938
	buffer_load_dwordx4 v32, s[20:23], 0 offen lds             // 000000006CE8: E05D1000 80050020
	s_add_i32 m0, m0, 0x3c0                                    // 000000006CF0: 817CFF7C 000003C0
	v_mfma_f32_16x16x32_bf16 v[42:45], a[76:79], a[4:7], v[42:45]// 000000006CF8: D3B5002A 1CAA094C
	buffer_load_dwordx4 v32, s[20:23], 0 offen offset:64 lds   // 000000006D00: E05D1040 80050020
	s_add_i32 m0, m0, 0x3c0                                    // 000000006D08: 817CFF7C 000003C0
	v_mfma_f32_16x16x32_bf16 v[42:45], a[80:83], a[8:11], v[42:45]// 000000006D10: D3B5002A 1CAA1150
	v_mul_f32_e32 v16, s5, v16                                 // 000000006D18: 0A202005
	v_exp_f32_e32 v16, v16                                     // 000000006D1C: 7E204110
	v_mfma_f32_16x16x32_bf16 v[42:45], a[84:87], a[12:15], v[42:45]// 000000006D20: D3B5002A 1CAA1954
	v_add_u32_e32 v26, s73, v26                                // 000000006D28: 68343449
	ds_read_b128 a[72:75], v19 offset:18432                    // 000000006D2C: DBFE4800 48000013
	ds_read_b128 a[76:79], v19 offset:19456                    // 000000006D34: DBFE4C00 4C000013
	v_fma_f32 v34, v34, s5, -v29                               // 000000006D3C: D1CB0022 84740B22
	v_mfma_f32_16x16x32_bf16 v[42:45], a[88:91], a[16:19], v[42:45]// 000000006D44: D3B5002A 1CAA2158
	ds_read_b128 a[80:83], v19 offset:20480                    // 000000006D4C: DBFE5000 50000013
	ds_read_b128 a[84:87], v19 offset:21504                    // 000000006D54: DBFE5400 54000013
	v_fma_f32 v35, v35, s5, -v29                               // 000000006D5C: D1CB0023 84740B23
	v_mfma_f32_16x16x32_bf16 v[42:45], a[92:95], a[20:23], v[42:45]// 000000006D64: D3B5002A 1CAA295C
	buffer_load_dwordx4 v32, s[20:23], 0 offen offset:128 lds  // 000000006D6C: E05D1080 80050020
	s_add_i32 m0, m0, 0x3c0                                    // 000000006D74: 817CFF7C 000003C0
	v_mfma_f32_16x16x32_bf16 v[42:45], a[96:99], a[24:27], v[42:45]// 000000006D7C: D3B5002A 1CAA3160
	v_fma_f32 v36, v36, s5, -v29                               // 000000006D84: D1CB0024 84740B24
	v_fma_f32 v37, v37, s5, -v29                               // 000000006D8C: D1CB0025 84740B25
	v_mfma_f32_16x16x32_bf16 v[42:45], a[100:103], a[28:31], v[42:45]// 000000006D94: D3B5002A 1CAA3964
	ds_read_b128 a[88:91], v19 offset:22528                    // 000000006D9C: DBFE5800 58000013
	ds_read_b128 a[92:95], v19 offset:23552                    // 000000006DA4: DBFE5C00 5C000013
	v_fma_f32 v38, v38, s5, -v29                               // 000000006DAC: D1CB0026 84740B26
	v_mfma_f32_16x16x32_bf16 v[42:45], a[104:107], a[32:35], v[42:45]// 000000006DB4: D3B5002A 1CAA4168
	ds_read_b128 a[96:99], v19 offset:24576                    // 000000006DBC: DBFE6000 60000013
	ds_read_b128 a[100:103], v19 offset:25600                  // 000000006DC4: DBFE6400 64000013
	v_fma_f32 v39, v39, s5, -v29                               // 000000006DCC: D1CB0027 84740B27
	v_mfma_f32_16x16x32_bf16 v[42:45], a[108:111], a[36:39], v[42:45]// 000000006DD4: D3B5002A 1CAA496C
	buffer_load_dwordx4 v32, s[20:23], 0 offen offset:192 lds  // 000000006DDC: E05D10C0 80050020
	s_add_i32 m0, m0, 0x3c0                                    // 000000006DE4: 817CFF7C 000003C0
	v_mfma_f32_16x16x32_bf16 v[42:45], a[112:115], a[40:43], v[42:45]// 000000006DEC: D3B5002A 1CAA5170
	v_fma_f32 v40, v40, s5, -v29                               // 000000006DF4: D1CB0028 84740B28
	v_fma_f32 v41, v41, s5, -v29                               // 000000006DFC: D1CB0029 84740B29
	v_mfma_f32_16x16x32_bf16 v[42:45], a[116:119], a[44:47], v[42:45]// 000000006E04: D3B5002A 1CAA5974
	v_exp_f32_e32 v34, v34                                     // 000000006E0C: 7E444122
	v_mfma_f32_16x16x32_bf16 v[42:45], a[120:123], a[48:51], v[42:45]// 000000006E10: D3B5002A 1CAA6178
	ds_read_b128 a[104:107], v19 offset:26624                  // 000000006E18: DBFE6800 68000013
	ds_read_b128 a[108:111], v19 offset:27648                  // 000000006E20: DBFE6C00 6C000013
	v_exp_f32_e32 v35, v35                                     // 000000006E28: 7E464123
	v_mfma_f32_16x16x32_bf16 v[42:45], a[124:127], a[52:55], v[42:45]// 000000006E2C: D3B5002A 1CAA697C
	buffer_load_dwordx4 v32, s[20:23], 0 offen offset:256 lds  // 000000006E34: E05D1100 80050020
	s_add_i32 m0, m0, 0x3c0                                    // 000000006E3C: 817CFF7C 000003C0
	v_mfma_f32_16x16x32_bf16 v[42:45], a[128:131], a[56:59], v[42:45]// 000000006E44: D3B5002A 1CAA7180
	v_exp_f32_e32 v36, v36                                     // 000000006E4C: 7E484124
	v_mfma_f32_16x16x32_bf16 v[42:45], a[132:135], a[60:63], v[42:45]// 000000006E50: D3B5002A 1CAA7984
	ds_read_b128 a[112:115], v19 offset:28672                  // 000000006E58: DBFE7000 70000013
	ds_read_b128 a[116:119], v19 offset:29696                  // 000000006E60: DBFE7400 74000013
	v_exp_f32_e32 v37, v37                                     // 000000006E68: 7E4A4125
	v_mfma_f32_16x16x32_bf16 v[42:45], a[136:139], a[64:67], v[42:45]// 000000006E6C: D3B5002A 1CAA8188
	ds_read_b128 a[120:123], v19 offset:30720                  // 000000006E74: DBFE7800 78000013
	ds_read_b128 a[124:127], v19 offset:31744                  // 000000006E7C: DBFE7C00 7C000013
	v_exp_f32_e32 v38, v38                                     // 000000006E84: 7E4C4126
	v_mfma_f32_16x16x32_bf16 v[42:45], a[140:143], a[68:71], v[42:45]// 000000006E88: D3B5002A 1CAA898C
	ds_read_b128 a[128:131], v19 offset:32768                  // 000000006E90: DBFE8000 80000013
	ds_read_b128 a[132:135], v19 offset:33792                  // 000000006E98: DBFE8400 84000013
	v_exp_f32_e32 v39, v39                                     // 000000006EA0: 7E4E4127
	ds_read_b128 a[136:139], v19 offset:34816                  // 000000006EA4: DBFE8800 88000013
	ds_read_b128 a[140:143], v19 offset:35840                  // 000000006EAC: DBFE8C00 8C000013
	v_exp_f32_e32 v40, v40                                     // 000000006EB4: 7E504128
	v_exp_f32_e32 v41, v41                                     // 000000006EB8: 7E524129
	v_mul_f32_e32 v4, v16, v4                                  // 000000006EBC: 0A080910
	v_mov_b32_e32 v28, v34                                     // 000000006EC0: 7E380322
	v_add_f32_e32 v28, v35, v28                                // 000000006EC4: 02383923
	v_add_f32_e32 v28, v36, v28                                // 000000006EC8: 02383924
	v_add_f32_e32 v28, v37, v28                                // 000000006ECC: 02383925
	v_add_f32_e32 v28, v38, v28                                // 000000006ED0: 02383926
	v_add_f32_e32 v28, v39, v28                                // 000000006ED4: 02383927
	v_add_f32_e32 v28, v40, v28                                // 000000006ED8: 02383928
	v_add_f32_e32 v28, v41, v28                                // 000000006EDC: 02383929
	v_add_f32_e32 v4, v28, v4                                  // 000000006EE0: 0208091C
	v_cvt_pk_bf16_f32 v34, v34, v35                            // 000000006EE4: D2680022 00024722
	v_cvt_pk_bf16_f32 v35, v36, v37                            // 000000006EEC: D2680023 00024B24
	v_cvt_pk_bf16_f32 v36, v38, v39                            // 000000006EF4: D2680024 00024F26
	v_cvt_pk_bf16_f32 v37, v40, v41                            // 000000006EFC: D2680025 00025328
	s_nop 0                                                    // 000000006F04: BF800000
	v_permlane32_swap_b32_e32 v34, v36                         // 000000006F08: 7E44B524
	v_permlane32_swap_b32_e32 v35, v37                         // 000000006F0C: 7E46B525
	s_nop 0                                                    // 000000006F10: BF800000
	v_permlane16_swap_b32_e32 v34, v36                         // 000000006F14: 7E44B324
	v_permlane16_swap_b32_e32 v35, v37                         // 000000006F18: 7E46B325
	s_waitcnt lgkmcnt(0)                                       // 000000006F1C: BF8CC07F
	v_mfma_f32_16x16x32_bf16 v[46:49], a[72:75], a[0:3], 0     // 000000006F20: D3B5002E 1A020148
	v_mul_f32_e32 v50, v16, v50                                // 000000006F28: 0A646510
	v_mul_f32_e32 v51, v16, v51                                // 000000006F2C: 0A666710
	ds_read_b64_tr_b16 a[144:145], v8                          // 000000006F30: DBC60000 90000008
	ds_read_b64_tr_b16 a[146:147], v8 offset:256               // 000000006F38: DBC60100 92000008
	v_mfma_f32_16x16x32_bf16 v[46:49], a[76:79], a[4:7], v[46:49]// 000000006F40: D3B5002E 1CBA094C
	buffer_load_dwordx4 v32, s[20:23], 0 offen offset:320 lds  // 000000006F48: E05D1140 80050020
	s_add_i32 m0, m0, 0x3c0                                    // 000000006F50: 817CFF7C 000003C0
	v_mul_f32_e32 v52, v16, v52                                // 000000006F58: 0A686910
	v_mul_f32_e32 v53, v16, v53                                // 000000006F5C: 0A6A6B10
	v_mfma_f32_16x16x32_bf16 v[46:49], a[80:83], a[8:11], v[46:49]// 000000006F60: D3B5002E 1CBA1150
	v_mul_f32_e32 v54, v16, v54                                // 000000006F68: 0A6C6D10
	v_mul_f32_e32 v55, v16, v55                                // 000000006F6C: 0A6E6F10
	ds_read_b64_tr_b16 a[148:149], v9                          // 000000006F70: DBC60000 94000009
	ds_read_b64_tr_b16 a[150:151], v9 offset:256               // 000000006F78: DBC60100 96000009
	v_mfma_f32_16x16x32_bf16 v[46:49], a[84:87], a[12:15], v[46:49]// 000000006F80: D3B5002E 1CBA1954
	v_mul_f32_e32 v56, v16, v56                                // 000000006F88: 0A707110
	v_mul_f32_e32 v57, v16, v57                                // 000000006F8C: 0A727310
	ds_read_b64_tr_b16 a[152:153], v8 offset:1024              // 000000006F90: DBC60400 98000008
	ds_read_b64_tr_b16 a[154:155], v8 offset:1280              // 000000006F98: DBC60500 9A000008
	v_mfma_f32_16x16x32_bf16 v[46:49], a[88:91], a[16:19], v[46:49]// 000000006FA0: D3B5002E 1CBA2158
	v_mul_f32_e32 v58, v16, v58                                // 000000006FA8: 0A747510
	v_mul_f32_e32 v59, v16, v59                                // 000000006FAC: 0A767710
	ds_read_b64_tr_b16 a[156:157], v9 offset:1024              // 000000006FB0: DBC60400 9C000009
	ds_read_b64_tr_b16 a[158:159], v9 offset:1280              // 000000006FB8: DBC60500 9E000009
	v_mfma_f32_16x16x32_bf16 v[46:49], a[92:95], a[20:23], v[46:49]// 000000006FC0: D3B5002E 1CBA295C
	v_mul_f32_e32 v60, v16, v60                                // 000000006FC8: 0A787910
	v_mul_f32_e32 v61, v16, v61                                // 000000006FCC: 0A7A7B10
	ds_read_b64_tr_b16 a[160:161], v8 offset:2048              // 000000006FD0: DBC60800 A0000008
	ds_read_b64_tr_b16 a[162:163], v8 offset:2304              // 000000006FD8: DBC60900 A2000008
	v_mfma_f32_16x16x32_bf16 v[46:49], a[96:99], a[24:27], v[46:49]// 000000006FE0: D3B5002E 1CBA3160
	v_mul_f32_e32 v62, v16, v62                                // 000000006FE8: 0A7C7D10
	v_mul_f32_e32 v63, v16, v63                                // 000000006FEC: 0A7E7F10
	ds_read_b64_tr_b16 a[164:165], v9 offset:2048              // 000000006FF0: DBC60800 A4000009
	ds_read_b64_tr_b16 a[166:167], v9 offset:2304              // 000000006FF8: DBC60900 A6000009
	v_mfma_f32_16x16x32_bf16 v[46:49], a[100:103], a[28:31], v[46:49]// 000000007000: D3B5002E 1CBA3964
	buffer_load_dwordx4 v32, s[20:23], 0 offen offset:384 lds  // 000000007008: E05D1180 80050020
	s_add_i32 m0, m0, 0x3c0                                    // 000000007010: 817CFF7C 000003C0
	v_mfma_f32_16x16x32_bf16 v[46:49], a[104:107], a[32:35], v[46:49]// 000000007018: D3B5002E 1CBA4168
	v_mul_f32_e32 v64, v16, v64                                // 000000007020: 0A808110
	v_mul_f32_e32 v65, v16, v65                                // 000000007024: 0A828310
	ds_read_b64_tr_b16 a[168:169], v8 offset:3072              // 000000007028: DBC60C00 A8000008
	ds_read_b64_tr_b16 a[170:171], v8 offset:3328              // 000000007030: DBC60D00 AA000008
	v_mfma_f32_16x16x32_bf16 v[46:49], a[108:111], a[36:39], v[46:49]// 000000007038: D3B5002E 1CBA496C
	v_mul_f32_e32 v66, v16, v66                                // 000000007040: 0A848510
	v_mul_f32_e32 v67, v16, v67                                // 000000007044: 0A868710
	ds_read_b64_tr_b16 a[172:173], v9 offset:3072              // 000000007048: DBC60C00 AC000009
	ds_read_b64_tr_b16 a[174:175], v9 offset:3328              // 000000007050: DBC60D00 AE000009
	v_mfma_f32_16x16x32_bf16 v[46:49], a[112:115], a[40:43], v[46:49]// 000000007058: D3B5002E 1CBA5170
	v_mul_f32_e32 v68, v16, v68                                // 000000007060: 0A888910
	v_mul_f32_e32 v69, v16, v69                                // 000000007064: 0A8A8B10
	ds_read_b64_tr_b16 a[176:177], v8 offset:4096              // 000000007068: DBC61000 B0000008
	ds_read_b64_tr_b16 a[178:179], v8 offset:4352              // 000000007070: DBC61100 B2000008
	v_mfma_f32_16x16x32_bf16 v[46:49], a[116:119], a[44:47], v[46:49]// 000000007078: D3B5002E 1CBA5974
	buffer_load_dwordx4 v32, s[20:23], 0 offen offset:448 lds  // 000000007080: E05D11C0 80050020
	s_add_i32 m0, m0, 0x3c0                                    // 000000007088: 817CFF7C 000003C0
	v_mul_f32_e32 v70, v16, v70                                // 000000007090: 0A8C8D10
	v_mul_f32_e32 v71, v16, v71                                // 000000007094: 0A8E8F10
	v_mfma_f32_16x16x32_bf16 v[46:49], a[120:123], a[48:51], v[46:49]// 000000007098: D3B5002E 1CBA6178
	v_mul_f32_e32 v72, v16, v72                                // 0000000070A0: 0A909110
	v_mul_f32_e32 v73, v16, v73                                // 0000000070A4: 0A929310
	ds_read_b64_tr_b16 a[180:181], v9 offset:4096              // 0000000070A8: DBC61000 B4000009
	ds_read_b64_tr_b16 a[182:183], v9 offset:4352              // 0000000070B0: DBC61100 B6000009
	v_mfma_f32_16x16x32_bf16 v[46:49], a[124:127], a[52:55], v[46:49]// 0000000070B8: D3B5002E 1CBA697C
	v_mul_f32_e32 v74, v16, v74                                // 0000000070C0: 0A949510
	v_mul_f32_e32 v75, v16, v75                                // 0000000070C4: 0A969710
	ds_read_b64_tr_b16 a[184:185], v8 offset:5120              // 0000000070C8: DBC61400 B8000008
	ds_read_b64_tr_b16 a[186:187], v8 offset:5376              // 0000000070D0: DBC61500 BA000008
	v_mfma_f32_16x16x32_bf16 v[46:49], a[128:131], a[56:59], v[46:49]// 0000000070D8: D3B5002E 1CBA7180
	v_mul_f32_e32 v76, v16, v76                                // 0000000070E0: 0A989910
	v_mul_f32_e32 v77, v16, v77                                // 0000000070E4: 0A9A9B10
	ds_read_b64_tr_b16 a[188:189], v9 offset:5120              // 0000000070E8: DBC61400 BC000009
	ds_read_b64_tr_b16 a[190:191], v9 offset:5376              // 0000000070F0: DBC61500 BE000009
	v_mfma_f32_16x16x32_bf16 v[46:49], a[132:135], a[60:63], v[46:49]// 0000000070F8: D3B5002E 1CBA7984
	buffer_load_dwordx4 v32, s[20:23], 0 offen offset:512 lds  // 000000007100: E05D1200 80050020
	s_add_i32 m0, m0, 0x3c0                                    // 000000007108: 817CFF7C 000003C0
	v_mfma_f32_16x16x32_bf16 v[46:49], a[136:139], a[64:67], v[46:49]// 000000007110: D3B5002E 1CBA8188
	v_mul_f32_e32 v78, v16, v78                                // 000000007118: 0A9C9D10
	v_mul_f32_e32 v79, v16, v79                                // 00000000711C: 0A9E9F10
	ds_read_b64_tr_b16 a[192:193], v8 offset:6144              // 000000007120: DBC61800 C0000008
	ds_read_b64_tr_b16 a[194:195], v8 offset:6400              // 000000007128: DBC61900 C2000008
	ds_read_b64_tr_b16 a[196:197], v9 offset:6144              // 000000007130: DBC61800 C4000009
	ds_read_b64_tr_b16 a[198:199], v9 offset:6400              // 000000007138: DBC61900 C6000009
	ds_read_b64_tr_b16 a[200:201], v8 offset:7168              // 000000007140: DBC61C00 C8000008
	ds_read_b64_tr_b16 a[202:203], v8 offset:7424              // 000000007148: DBC61D00 CA000008
	ds_read_b64_tr_b16 a[204:205], v9 offset:7168              // 000000007150: DBC61C00 CC000009
	ds_read_b64_tr_b16 a[206:207], v9 offset:7424              // 000000007158: DBC61D00 CE000009
	v_mov_b32_e32 v30, v16                                     // 000000007160: 7E3C0310
	v_mov_b32_e32 v31, v16                                     // 000000007164: 7E3E0310
	v_pk_mul_f32 v[80:81], v[30:31], v[80:81]                  // 000000007168: D3B14050 1802A11E
	v_pk_mul_f32 v[82:83], v[30:31], v[82:83]                  // 000000007170: D3B14052 1802A51E
	v_pk_mul_f32 v[84:85], v[30:31], v[84:85]                  // 000000007178: D3B14054 1802A91E
	v_pk_mul_f32 v[86:87], v[30:31], v[86:87]                  // 000000007180: D3B14056 1802AD1E
	v_pk_mul_f32 v[88:89], v[30:31], v[88:89]                  // 000000007188: D3B14058 1802B11E
	v_pk_mul_f32 v[90:91], v[30:31], v[90:91]                  // 000000007190: D3B1405A 1802B51E
	v_pk_mul_f32 v[92:93], v[30:31], v[92:93]                  // 000000007198: D3B1405C 1802B91E
	v_pk_mul_f32 v[94:95], v[30:31], v[94:95]                  // 0000000071A0: D3B1405E 1802BD1E
	v_pk_mul_f32 v[96:97], v[30:31], v[96:97]                  // 0000000071A8: D3B14060 1802C11E
	v_pk_mul_f32 v[98:99], v[30:31], v[98:99]                  // 0000000071B0: D3B14062 1802C51E
	v_pk_mul_f32 v[100:101], v[30:31], v[100:101]              // 0000000071B8: D3B14064 1802C91E
	v_pk_mul_f32 v[102:103], v[30:31], v[102:103]              // 0000000071C0: D3B14066 1802CD1E
	v_pk_mul_f32 v[104:105], v[30:31], v[104:105]              // 0000000071C8: D3B14068 1802D11E
	v_pk_mul_f32 v[106:107], v[30:31], v[106:107]              // 0000000071D0: D3B1406A 1802D51E
	v_pk_mul_f32 v[108:109], v[30:31], v[108:109]              // 0000000071D8: D3B1406C 1802D91E
	v_pk_mul_f32 v[110:111], v[30:31], v[110:111]              // 0000000071E0: D3B1406E 1802DD1E
	v_pk_mul_f32 v[112:113], v[30:31], v[112:113]              // 0000000071E8: D3B14070 1802E11E
	v_pk_mul_f32 v[114:115], v[30:31], v[114:115]              // 0000000071F0: D3B14072 1802E51E
	v_pk_mul_f32 v[116:117], v[30:31], v[116:117]              // 0000000071F8: D3B14074 1802E91E
	v_pk_mul_f32 v[118:119], v[30:31], v[118:119]              // 000000007200: D3B14076 1802ED1E
	v_pk_mul_f32 v[120:121], v[30:31], v[120:121]              // 000000007208: D3B14078 1802F11E
	v_pk_mul_f32 v[122:123], v[30:31], v[122:123]              // 000000007210: D3B1407A 1802F51E
	v_pk_mul_f32 v[124:125], v[30:31], v[124:125]              // 000000007218: D3B1407C 1802F91E
	v_pk_mul_f32 v[126:127], v[30:31], v[126:127]              // 000000007220: D3B1407E 1802FD1E
	v_pk_mul_f32 v[128:129], v[30:31], v[128:129]              // 000000007228: D3B14080 1803011E
	v_pk_mul_f32 v[130:131], v[30:31], v[130:131]              // 000000007230: D3B14082 1803051E
	v_pk_mul_f32 v[132:133], v[30:31], v[132:133]              // 000000007238: D3B14084 1803091E
	v_pk_mul_f32 v[134:135], v[30:31], v[134:135]              // 000000007240: D3B14086 18030D1E
	v_pk_mul_f32 v[136:137], v[30:31], v[136:137]              // 000000007248: D3B14088 1803111E
	v_pk_mul_f32 v[138:139], v[30:31], v[138:139]              // 000000007250: D3B1408A 1803151E
	v_pk_mul_f32 v[140:141], v[30:31], v[140:141]              // 000000007258: D3B1408C 1803191E
	v_pk_mul_f32 v[142:143], v[30:31], v[142:143]              // 000000007260: D3B1408E 18031D1E
	v_pk_mul_f32 v[144:145], v[30:31], v[144:145]              // 000000007268: D3B14090 1803211E
	v_pk_mul_f32 v[146:147], v[30:31], v[146:147]              // 000000007270: D3B14092 1803251E
	v_pk_mul_f32 v[148:149], v[30:31], v[148:149]              // 000000007278: D3B14094 1803291E
	v_pk_mul_f32 v[150:151], v[30:31], v[150:151]              // 000000007280: D3B14096 18032D1E
	v_pk_mul_f32 v[152:153], v[30:31], v[152:153]              // 000000007288: D3B14098 1803311E
	v_pk_mul_f32 v[154:155], v[30:31], v[154:155]              // 000000007290: D3B1409A 1803351E
	v_pk_mul_f32 v[156:157], v[30:31], v[156:157]              // 000000007298: D3B1409C 1803391E
	v_pk_mul_f32 v[158:159], v[30:31], v[158:159]              // 0000000072A0: D3B1409E 18033D1E
	v_pk_mul_f32 v[160:161], v[30:31], v[160:161]              // 0000000072A8: D3B140A0 1803411E
	v_pk_mul_f32 v[162:163], v[30:31], v[162:163]              // 0000000072B0: D3B140A2 1803451E
	v_pk_mul_f32 v[164:165], v[30:31], v[164:165]              // 0000000072B8: D3B140A4 1803491E
	v_pk_mul_f32 v[166:167], v[30:31], v[166:167]              // 0000000072C0: D3B140A6 18034D1E
	v_pk_mul_f32 v[168:169], v[30:31], v[168:169]              // 0000000072C8: D3B140A8 1803511E
	v_pk_mul_f32 v[170:171], v[30:31], v[170:171]              // 0000000072D0: D3B140AA 1803551E
	v_pk_mul_f32 v[172:173], v[30:31], v[172:173]              // 0000000072D8: D3B140AC 1803591E
	v_pk_mul_f32 v[174:175], v[30:31], v[174:175]              // 0000000072E0: D3B140AE 18035D1E
	v_pk_mul_f32 v[176:177], v[30:31], v[176:177]              // 0000000072E8: D3B140B0 1803611E
	v_mfma_f32_16x16x32_bf16 v[46:49], a[140:143], a[68:71], v[46:49]// 0000000072F0: D3B5002E 1CBA898C
	s_addk_i32 s70, 0x1                                        // 0000000072F8: B7460001
	s_cmp_lt_i32 s70, s71                                      // 0000000072FC: BF044746
	s_cbranch_scc0 label_3B18                                  // 000000007300: BF84FB45
	s_waitcnt lgkmcnt(0)                                       // 000000007304: BF8CC07F
	v_mul_u32_u24_e64 v32, v24, s68                            // 000000007308: D1080020 00008918
	v_add_u32_e32 v32, v32, v1                                 // 000000007310: 68400320
	v_mfma_f32_16x16x32_bf16 v[50:53], a[144:147], v[34:37], v[50:53]// 000000007314: D3B50032 0CCA4590
	v_mov_b32_e32 v29, v42                                     // 00000000731C: 7E3A032A
	v_max3_f32 v29, v42, v43, v29                              // 000000007320: D1D3001D 0476572A
	v_mfma_f32_16x16x32_bf16 v[54:57], a[148:151], v[34:37], v[54:57]// 000000007328: D3B50036 0CDA4594
	ds_read_b64_tr_b16 a[144:145], v8 offset:8192              // 000000007330: DBC62000 90000008
	ds_read_b64_tr_b16 a[146:147], v8 offset:8448              // 000000007338: DBC62100 92000008
	v_mfma_f32_16x16x32_bf16 v[58:61], a[152:155], v[34:37], v[58:61]// 000000007340: D3B5003A 0CEA4598
	v_max3_f32 v29, v44, v45, v29                              // 000000007348: D1D3001D 04765B2C
	v_max3_f32 v29, v46, v47, v29                              // 000000007350: D1D3001D 04765F2E
	v_mfma_f32_16x16x32_bf16 v[62:65], a[156:159], v[34:37], v[62:65]// 000000007358: D3B5003E 0CFA459C
	ds_read_b64_tr_b16 a[148:149], v9 offset:8192              // 000000007360: DBC62000 94000009
	ds_read_b64_tr_b16 a[150:151], v9 offset:8448              // 000000007368: DBC62100 96000009
	v_mfma_f32_16x16x32_bf16 v[66:69], a[160:163], v[34:37], v[66:69]// 000000007370: D3B50042 0D0A45A0
	v_max3_f32 v29, v48, v49, v29                              // 000000007378: D1D3001D 04766330
	v_mov_b32_e32 v28, v29                                     // 000000007380: 7E38031D
	v_mfma_f32_16x16x32_bf16 v[70:73], a[164:167], v[34:37], v[70:73]// 000000007384: D3B50046 0D1A45A4
	ds_read_b64_tr_b16 a[152:153], v8 offset:9216              // 00000000738C: DBC62400 98000008
	ds_read_b64_tr_b16 a[154:155], v8 offset:9472              // 000000007394: DBC62500 9A000008
	v_mfma_f32_16x16x32_bf16 v[74:77], a[168:171], v[34:37], v[74:77]// 00000000739C: D3B5004A 0D2A45A8
	v_mov_b32_e32 v29, v29                                     // 0000000073A4: 7E3A031D
	s_nop 1                                                    // 0000000073A8: BF800001
	v_mfma_f32_16x16x32_bf16 v[78:81], a[172:175], v[34:37], v[78:81]// 0000000073AC: D3B5004E 0D3A45AC
	ds_read_b64_tr_b16 a[156:157], v9 offset:9216              // 0000000073B4: DBC62400 9C000009
	ds_read_b64_tr_b16 a[158:159], v9 offset:9472              // 0000000073BC: DBC62500 9E000009
	v_mfma_f32_16x16x32_bf16 v[82:85], a[176:179], v[34:37], v[82:85]// 0000000073C4: D3B50052 0D4A45B0
	v_permlane16_swap_b32_e32 v28, v29                         // 0000000073CC: 7E38B31D
	v_mfma_f32_16x16x32_bf16 v[86:89], a[180:183], v[34:37], v[86:89]// 0000000073D0: D3B50056 0D5A45B4
	ds_read_b64_tr_b16 a[160:161], v8 offset:10240             // 0000000073D8: DBC62800 A0000008
	ds_read_b64_tr_b16 a[162:163], v8 offset:10496             // 0000000073E0: DBC62900 A2000008
	v_mfma_f32_16x16x32_bf16 v[90:93], a[184:187], v[34:37], v[90:93]// 0000000073E8: D3B5005A 0D6A45B8
	v_mov_b32_e32 v31, v28                                     // 0000000073F0: 7E3E031C
	v_mov_b32_e32 v30, v29                                     // 0000000073F4: 7E3C031D
	v_mfma_f32_16x16x32_bf16 v[94:97], a[188:191], v[34:37], v[94:97]// 0000000073F8: D3B5005E 0D7A45BC
	ds_read_b64_tr_b16 a[164:165], v9 offset:10240             // 000000007400: DBC62800 A4000009
	ds_read_b64_tr_b16 a[166:167], v9 offset:10496             // 000000007408: DBC62900 A6000009
	v_mfma_f32_16x16x32_bf16 v[98:101], a[192:195], v[34:37], v[98:101]// 000000007410: D3B50062 0D8A45C0
	s_nop 1                                                    // 000000007418: BF800001
	v_permlane32_swap_b32_e32 v28, v29                         // 00000000741C: 7E38B51D
	v_mfma_f32_16x16x32_bf16 v[102:105], a[196:199], v[34:37], v[102:105]// 000000007420: D3B50066 0D9A45C4
	ds_read_b64_tr_b16 a[168:169], v8 offset:11264             // 000000007428: DBC62C00 A8000008
	ds_read_b64_tr_b16 a[170:171], v8 offset:11520             // 000000007430: DBC62D00 AA000008
	v_mfma_f32_16x16x32_bf16 v[106:109], a[200:203], v[34:37], v[106:109]// 000000007438: D3B5006A 0DAA45C8
	v_permlane32_swap_b32_e32 v30, v31                         // 000000007440: 7E3CB51F
	v_mfma_f32_16x16x32_bf16 v[110:113], a[204:207], v[34:37], v[110:113]// 000000007444: D3B5006E 0DBA45CC
	ds_read_b64_tr_b16 a[172:173], v9 offset:11264             // 00000000744C: DBC62C00 AC000009
	ds_read_b64_tr_b16 a[174:175], v9 offset:11520             // 000000007454: DBC62D00 AE000009
	ds_read_b64_tr_b16 a[176:177], v8 offset:12288             // 00000000745C: DBC63000 B0000008
	ds_read_b64_tr_b16 a[178:179], v8 offset:12544             // 000000007464: DBC63100 B2000008
	ds_read_b64_tr_b16 a[180:181], v9 offset:12288             // 00000000746C: DBC63000 B4000009
	ds_read_b64_tr_b16 a[182:183], v9 offset:12544             // 000000007474: DBC63100 B6000009
	ds_read_b64_tr_b16 a[184:185], v8 offset:13312             // 00000000747C: DBC63400 B8000008
	ds_read_b64_tr_b16 a[186:187], v8 offset:13568             // 000000007484: DBC63500 BA000008
	ds_read_b64_tr_b16 a[188:189], v9 offset:13312             // 00000000748C: DBC63400 BC000009
	ds_read_b64_tr_b16 a[190:191], v9 offset:13568             // 000000007494: DBC63500 BE000009
	s_waitcnt lgkmcnt(0)                                       // 00000000749C: BF8CC07F
	v_mfma_f32_16x16x32_bf16 v[114:117], a[144:147], v[34:37], v[114:117]// 0000000074A0: D3B50072 0DCA4590
	ds_read_b64_tr_b16 a[192:193], v8 offset:14336             // 0000000074A8: DBC63800 C0000008
	ds_read_b64_tr_b16 a[194:195], v8 offset:14592             // 0000000074B0: DBC63900 C2000008
	v_mfma_f32_16x16x32_bf16 v[118:121], a[148:151], v[34:37], v[118:121]// 0000000074B8: D3B50076 0DDA4594
	s_waitcnt vmcnt(10)                                        // 0000000074C0: BF8C0F7A
	s_barrier                                                  // 0000000074C4: BF8A0000
	ds_read_b128 a[72:75], v20                                 // 0000000074C8: DBFE0000 48000014
	ds_read_b128 a[76:79], v20 offset:1024                     // 0000000074D0: DBFE0400 4C000014
	v_mfma_f32_16x16x32_bf16 v[122:125], a[152:155], v[34:37], v[122:125]// 0000000074D8: D3B5007A 0DEA4598
	ds_read_b64_tr_b16 a[196:197], v9 offset:14336             // 0000000074E0: DBC63800 C4000009
	ds_read_b64_tr_b16 a[198:199], v9 offset:14592             // 0000000074E8: DBC63900 C6000009
	v_mfma_f32_16x16x32_bf16 v[126:129], a[156:159], v[34:37], v[126:129]// 0000000074F0: D3B5007E 0DFA459C
	ds_read_b128 a[80:83], v20 offset:2048                     // 0000000074F8: DBFE0800 50000014
	ds_read_b128 a[84:87], v20 offset:3072                     // 000000007500: DBFE0C00 54000014
	v_mfma_f32_16x16x32_bf16 v[130:133], a[160:163], v[34:37], v[130:133]// 000000007508: D3B50082 0E0A45A0
	ds_read_b64_tr_b16 a[200:201], v8 offset:15360             // 000000007510: DBC63C00 C8000008
	ds_read_b64_tr_b16 a[202:203], v8 offset:15616             // 000000007518: DBC63D00 CA000008
	v_mfma_f32_16x16x32_bf16 v[134:137], a[164:167], v[34:37], v[134:137]// 000000007520: D3B50086 0E1A45A4
	ds_read_b128 a[88:91], v20 offset:4096                     // 000000007528: DBFE1000 58000014
	ds_read_b128 a[92:95], v20 offset:5120                     // 000000007530: DBFE1400 5C000014
	v_mfma_f32_16x16x32_bf16 v[138:141], a[168:171], v[34:37], v[138:141]// 000000007538: D3B5008A 0E2A45A8
	ds_read_b64_tr_b16 a[204:205], v9 offset:15360             // 000000007540: DBC63C00 CC000009
	ds_read_b64_tr_b16 a[206:207], v9 offset:15616             // 000000007548: DBC63D00 CE000009
	v_mfma_f32_16x16x32_bf16 v[142:145], a[172:175], v[34:37], v[142:145]// 000000007550: D3B5008E 0E3A45AC
	ds_read_b128 a[96:99], v20 offset:6144                     // 000000007558: DBFE1800 60000014
	ds_read_b128 a[100:103], v20 offset:7168                   // 000000007560: DBFE1C00 64000014
	v_mfma_f32_16x16x32_bf16 v[146:149], a[176:179], v[34:37], v[146:149]// 000000007568: D3B50092 0E4A45B0
	v_max3_f32 v29, v28, v29, v29                              // 000000007570: D1D3001D 04763B1C
	v_max3_f32 v29, v30, v31, v29                              // 000000007578: D1D3001D 04763F1E
	v_mfma_f32_16x16x32_bf16 v[150:153], a[180:183], v[34:37], v[150:153]// 000000007580: D3B50096 0E5A45B4
	ds_read_b128 a[104:107], v20 offset:8192                   // 000000007588: DBFE2000 68000014
	ds_read_b128 a[108:111], v20 offset:9216                   // 000000007590: DBFE2400 6C000014
	v_mfma_f32_16x16x32_bf16 v[154:157], a[184:187], v[34:37], v[154:157]// 000000007598: D3B5009A 0E6A45B8
	v_mov_b32_e32 v28, 0xff800000                              // 0000000075A0: 7E3802FF FF800000
	v_cmp_eq_u32_e64 s[36:37], v28, v2                         // 0000000075A8: D0CA0024 0002051C
	v_mfma_f32_16x16x32_bf16 v[158:161], a[188:191], v[34:37], v[158:161]// 0000000075B0: D3B5009E 0E7A45BC
	ds_read_b128 a[112:115], v20 offset:10240                  // 0000000075B8: DBFE2800 70000014
	ds_read_b128 a[116:119], v20 offset:11264                  // 0000000075C0: DBFE2C00 74000014
	v_mfma_f32_16x16x32_bf16 v[162:165], a[192:195], v[34:37], v[162:165]// 0000000075C8: D3B500A2 0E8A45C0
	v_max_f32_e32 v29, v29, v2                                 // 0000000075D0: 163A051D
	v_sub_f32_e32 v16, v2, v29                                 // 0000000075D4: 04203B02
	v_mfma_f32_16x16x32_bf16 v[166:169], a[196:199], v[34:37], v[166:169]// 0000000075D8: D3B500A6 0E9A45C4
	ds_read_b128 a[120:123], v20 offset:12288                  // 0000000075E0: DBFE3000 78000014
	ds_read_b128 a[124:127], v20 offset:13312                  // 0000000075E8: DBFE3400 7C000014
	v_mfma_f32_16x16x32_bf16 v[170:173], a[200:203], v[34:37], v[170:173]// 0000000075F0: D3B500AA 0EAA45C8
	v_cndmask_b32_e64 v16, v16, 0, s[36:37]                    // 0000000075F8: D1000010 00910110
	v_mov_b32_e32 v2, v29                                      // 000000007600: 7E04031D
	v_mfma_f32_16x16x32_bf16 v[174:177], a[204:207], v[34:37], v[174:177]// 000000007604: D3B500AE 0EBA45CC
	ds_read_b128 a[128:131], v20 offset:14336                  // 00000000760C: DBFE3800 80000014
	ds_read_b128 a[132:135], v20 offset:15360                  // 000000007614: DBFE3C00 84000014
	ds_read_b128 a[136:139], v20 offset:16384                  // 00000000761C: DBFE4000 88000014
	ds_read_b128 a[140:143], v20 offset:17408                  // 000000007624: DBFE4400 8C000014
	s_waitcnt lgkmcnt(0)                                       // 00000000762C: BF8CC07F
	v_mfma_f32_16x16x32_bf16 v[34:37], a[72:75], a[0:3], 0     // 000000007630: D3B50022 1A020148
	buffer_load_dword v22, v26, s[24:27], 0 offen              // 000000007638: E0501000 8006161A
	v_mul_f32_e32 v29, s5, v29                                 // 000000007640: 0A3A3A05
	s_mov_b32 s56, 0x2000                                      // 000000007644: BEB800FF 00002000
	s_mul_i32 s57, s7, 0x2400                                  // 00000000764C: 9239FF07 00002400
	s_add_u32 m0, s56, s57                                     // 000000007654: 807C3938
	buffer_load_dwordx4 v32, s[20:23], 0 offen lds             // 000000007658: E05D1000 80050020
	s_add_i32 m0, m0, 0x3c0                                    // 000000007660: 817CFF7C 000003C0
	v_mfma_f32_16x16x32_bf16 v[34:37], a[76:79], a[4:7], v[34:37]// 000000007668: D3B50022 1C8A094C
	buffer_load_dwordx4 v32, s[20:23], 0 offen offset:64 lds   // 000000007670: E05D1040 80050020
	s_add_i32 m0, m0, 0x3c0                                    // 000000007678: 817CFF7C 000003C0
	v_mfma_f32_16x16x32_bf16 v[34:37], a[80:83], a[8:11], v[34:37]// 000000007680: D3B50022 1C8A1150
	v_mul_f32_e32 v16, s5, v16                                 // 000000007688: 0A202005
	v_exp_f32_e32 v16, v16                                     // 00000000768C: 7E204110
	v_mfma_f32_16x16x32_bf16 v[34:37], a[84:87], a[12:15], v[34:37]// 000000007690: D3B50022 1C8A1954
	v_add_u32_e32 v26, s73, v26                                // 000000007698: 68343449
	ds_read_b128 a[72:75], v20 offset:18432                    // 00000000769C: DBFE4800 48000014
	ds_read_b128 a[76:79], v20 offset:19456                    // 0000000076A4: DBFE4C00 4C000014
	v_fma_f32 v42, v42, s5, -v29                               // 0000000076AC: D1CB002A 84740B2A
	v_mfma_f32_16x16x32_bf16 v[34:37], a[88:91], a[16:19], v[34:37]// 0000000076B4: D3B50022 1C8A2158
	ds_read_b128 a[80:83], v20 offset:20480                    // 0000000076BC: DBFE5000 50000014
	ds_read_b128 a[84:87], v20 offset:21504                    // 0000000076C4: DBFE5400 54000014
	v_fma_f32 v43, v43, s5, -v29                               // 0000000076CC: D1CB002B 84740B2B
	v_mfma_f32_16x16x32_bf16 v[34:37], a[92:95], a[20:23], v[34:37]// 0000000076D4: D3B50022 1C8A295C
	buffer_load_dwordx4 v32, s[20:23], 0 offen offset:128 lds  // 0000000076DC: E05D1080 80050020
	s_add_i32 m0, m0, 0x3c0                                    // 0000000076E4: 817CFF7C 000003C0
	v_mfma_f32_16x16x32_bf16 v[34:37], a[96:99], a[24:27], v[34:37]// 0000000076EC: D3B50022 1C8A3160
	v_fma_f32 v44, v44, s5, -v29                               // 0000000076F4: D1CB002C 84740B2C
	v_fma_f32 v45, v45, s5, -v29                               // 0000000076FC: D1CB002D 84740B2D
	v_mfma_f32_16x16x32_bf16 v[34:37], a[100:103], a[28:31], v[34:37]// 000000007704: D3B50022 1C8A3964
	ds_read_b128 a[88:91], v20 offset:22528                    // 00000000770C: DBFE5800 58000014
	ds_read_b128 a[92:95], v20 offset:23552                    // 000000007714: DBFE5C00 5C000014
	v_fma_f32 v46, v46, s5, -v29                               // 00000000771C: D1CB002E 84740B2E
	v_mfma_f32_16x16x32_bf16 v[34:37], a[104:107], a[32:35], v[34:37]// 000000007724: D3B50022 1C8A4168
	ds_read_b128 a[96:99], v20 offset:24576                    // 00000000772C: DBFE6000 60000014
	ds_read_b128 a[100:103], v20 offset:25600                  // 000000007734: DBFE6400 64000014
	v_fma_f32 v47, v47, s5, -v29                               // 00000000773C: D1CB002F 84740B2F
	v_mfma_f32_16x16x32_bf16 v[34:37], a[108:111], a[36:39], v[34:37]// 000000007744: D3B50022 1C8A496C
	buffer_load_dwordx4 v32, s[20:23], 0 offen offset:192 lds  // 00000000774C: E05D10C0 80050020
	s_add_i32 m0, m0, 0x3c0                                    // 000000007754: 817CFF7C 000003C0
	v_mfma_f32_16x16x32_bf16 v[34:37], a[112:115], a[40:43], v[34:37]// 00000000775C: D3B50022 1C8A5170
	v_fma_f32 v48, v48, s5, -v29                               // 000000007764: D1CB0030 84740B30
	v_fma_f32 v49, v49, s5, -v29                               // 00000000776C: D1CB0031 84740B31
	v_mfma_f32_16x16x32_bf16 v[34:37], a[116:119], a[44:47], v[34:37]// 000000007774: D3B50022 1C8A5974
	v_exp_f32_e32 v42, v42                                     // 00000000777C: 7E54412A
	v_mfma_f32_16x16x32_bf16 v[34:37], a[120:123], a[48:51], v[34:37]// 000000007780: D3B50022 1C8A6178
	ds_read_b128 a[104:107], v20 offset:26624                  // 000000007788: DBFE6800 68000014
	ds_read_b128 a[108:111], v20 offset:27648                  // 000000007790: DBFE6C00 6C000014
	v_exp_f32_e32 v43, v43                                     // 000000007798: 7E56412B
	v_mfma_f32_16x16x32_bf16 v[34:37], a[124:127], a[52:55], v[34:37]// 00000000779C: D3B50022 1C8A697C
	buffer_load_dwordx4 v32, s[20:23], 0 offen offset:256 lds  // 0000000077A4: E05D1100 80050020
	s_add_i32 m0, m0, 0x3c0                                    // 0000000077AC: 817CFF7C 000003C0
	v_mfma_f32_16x16x32_bf16 v[34:37], a[128:131], a[56:59], v[34:37]// 0000000077B4: D3B50022 1C8A7180
	v_exp_f32_e32 v44, v44                                     // 0000000077BC: 7E58412C
	v_mfma_f32_16x16x32_bf16 v[34:37], a[132:135], a[60:63], v[34:37]// 0000000077C0: D3B50022 1C8A7984
	ds_read_b128 a[112:115], v20 offset:28672                  // 0000000077C8: DBFE7000 70000014
	ds_read_b128 a[116:119], v20 offset:29696                  // 0000000077D0: DBFE7400 74000014
	v_exp_f32_e32 v45, v45                                     // 0000000077D8: 7E5A412D
	v_mfma_f32_16x16x32_bf16 v[34:37], a[136:139], a[64:67], v[34:37]// 0000000077DC: D3B50022 1C8A8188
	ds_read_b128 a[120:123], v20 offset:30720                  // 0000000077E4: DBFE7800 78000014
	ds_read_b128 a[124:127], v20 offset:31744                  // 0000000077EC: DBFE7C00 7C000014
	v_exp_f32_e32 v46, v46                                     // 0000000077F4: 7E5C412E
	v_mfma_f32_16x16x32_bf16 v[34:37], a[140:143], a[68:71], v[34:37]// 0000000077F8: D3B50022 1C8A898C
	ds_read_b128 a[128:131], v20 offset:32768                  // 000000007800: DBFE8000 80000014
	ds_read_b128 a[132:135], v20 offset:33792                  // 000000007808: DBFE8400 84000014
	v_exp_f32_e32 v47, v47                                     // 000000007810: 7E5E412F
	ds_read_b128 a[136:139], v20 offset:34816                  // 000000007814: DBFE8800 88000014
	ds_read_b128 a[140:143], v20 offset:35840                  // 00000000781C: DBFE8C00 8C000014
	v_exp_f32_e32 v48, v48                                     // 000000007824: 7E604130
	v_exp_f32_e32 v49, v49                                     // 000000007828: 7E624131
	v_mul_f32_e32 v4, v16, v4                                  // 00000000782C: 0A080910
	v_mov_b32_e32 v28, v42                                     // 000000007830: 7E38032A
	v_add_f32_e32 v28, v43, v28                                // 000000007834: 0238392B
	v_add_f32_e32 v28, v44, v28                                // 000000007838: 0238392C
	v_add_f32_e32 v28, v45, v28                                // 00000000783C: 0238392D
	v_add_f32_e32 v28, v46, v28                                // 000000007840: 0238392E
	v_add_f32_e32 v28, v47, v28                                // 000000007844: 0238392F
	v_add_f32_e32 v28, v48, v28                                // 000000007848: 02383930
	v_add_f32_e32 v28, v49, v28                                // 00000000784C: 02383931
	v_add_f32_e32 v4, v28, v4                                  // 000000007850: 0208091C
	v_cvt_pk_bf16_f32 v42, v42, v43                            // 000000007854: D268002A 0002572A
	v_cvt_pk_bf16_f32 v43, v44, v45                            // 00000000785C: D268002B 00025B2C
	v_cvt_pk_bf16_f32 v44, v46, v47                            // 000000007864: D268002C 00025F2E
	v_cvt_pk_bf16_f32 v45, v48, v49                            // 00000000786C: D268002D 00026330
	s_nop 0                                                    // 000000007874: BF800000
	v_permlane32_swap_b32_e32 v42, v44                         // 000000007878: 7E54B52C
	v_permlane32_swap_b32_e32 v43, v45                         // 00000000787C: 7E56B52D
	s_nop 0                                                    // 000000007880: BF800000
	v_permlane16_swap_b32_e32 v42, v44                         // 000000007884: 7E54B32C
	v_permlane16_swap_b32_e32 v43, v45                         // 000000007888: 7E56B32D
	s_waitcnt lgkmcnt(0)                                       // 00000000788C: BF8CC07F
	v_mfma_f32_16x16x32_bf16 v[38:41], a[72:75], a[0:3], 0     // 000000007890: D3B50026 1A020148
	v_mul_f32_e32 v50, v16, v50                                // 000000007898: 0A646510
	v_mul_f32_e32 v51, v16, v51                                // 00000000789C: 0A666710
	ds_read_b64_tr_b16 a[144:145], v10                         // 0000000078A0: DBC60000 9000000A
	ds_read_b64_tr_b16 a[146:147], v10 offset:256              // 0000000078A8: DBC60100 9200000A
	v_mfma_f32_16x16x32_bf16 v[38:41], a[76:79], a[4:7], v[38:41]// 0000000078B0: D3B50026 1C9A094C
	buffer_load_dwordx4 v32, s[20:23], 0 offen offset:320 lds  // 0000000078B8: E05D1140 80050020
	s_add_i32 m0, m0, 0x3c0                                    // 0000000078C0: 817CFF7C 000003C0
	v_mul_f32_e32 v52, v16, v52                                // 0000000078C8: 0A686910
	v_mul_f32_e32 v53, v16, v53                                // 0000000078CC: 0A6A6B10
	v_mfma_f32_16x16x32_bf16 v[38:41], a[80:83], a[8:11], v[38:41]// 0000000078D0: D3B50026 1C9A1150
	v_mul_f32_e32 v54, v16, v54                                // 0000000078D8: 0A6C6D10
	v_mul_f32_e32 v55, v16, v55                                // 0000000078DC: 0A6E6F10
	ds_read_b64_tr_b16 a[148:149], v11                         // 0000000078E0: DBC60000 9400000B
	ds_read_b64_tr_b16 a[150:151], v11 offset:256              // 0000000078E8: DBC60100 9600000B
	v_mfma_f32_16x16x32_bf16 v[38:41], a[84:87], a[12:15], v[38:41]// 0000000078F0: D3B50026 1C9A1954
	v_mul_f32_e32 v56, v16, v56                                // 0000000078F8: 0A707110
	v_mul_f32_e32 v57, v16, v57                                // 0000000078FC: 0A727310
	ds_read_b64_tr_b16 a[152:153], v10 offset:1024             // 000000007900: DBC60400 9800000A
	ds_read_b64_tr_b16 a[154:155], v10 offset:1280             // 000000007908: DBC60500 9A00000A
	v_mfma_f32_16x16x32_bf16 v[38:41], a[88:91], a[16:19], v[38:41]// 000000007910: D3B50026 1C9A2158
	v_mul_f32_e32 v58, v16, v58                                // 000000007918: 0A747510
	v_mul_f32_e32 v59, v16, v59                                // 00000000791C: 0A767710
	ds_read_b64_tr_b16 a[156:157], v11 offset:1024             // 000000007920: DBC60400 9C00000B
	ds_read_b64_tr_b16 a[158:159], v11 offset:1280             // 000000007928: DBC60500 9E00000B
	v_mfma_f32_16x16x32_bf16 v[38:41], a[92:95], a[20:23], v[38:41]// 000000007930: D3B50026 1C9A295C
	v_mul_f32_e32 v60, v16, v60                                // 000000007938: 0A787910
	v_mul_f32_e32 v61, v16, v61                                // 00000000793C: 0A7A7B10
	ds_read_b64_tr_b16 a[160:161], v10 offset:2048             // 000000007940: DBC60800 A000000A
	ds_read_b64_tr_b16 a[162:163], v10 offset:2304             // 000000007948: DBC60900 A200000A
	v_mfma_f32_16x16x32_bf16 v[38:41], a[96:99], a[24:27], v[38:41]// 000000007950: D3B50026 1C9A3160
	v_mul_f32_e32 v62, v16, v62                                // 000000007958: 0A7C7D10
	v_mul_f32_e32 v63, v16, v63                                // 00000000795C: 0A7E7F10
	ds_read_b64_tr_b16 a[164:165], v11 offset:2048             // 000000007960: DBC60800 A400000B
	ds_read_b64_tr_b16 a[166:167], v11 offset:2304             // 000000007968: DBC60900 A600000B
	v_mfma_f32_16x16x32_bf16 v[38:41], a[100:103], a[28:31], v[38:41]// 000000007970: D3B50026 1C9A3964
	buffer_load_dwordx4 v32, s[20:23], 0 offen offset:384 lds  // 000000007978: E05D1180 80050020
	s_add_i32 m0, m0, 0x3c0                                    // 000000007980: 817CFF7C 000003C0
	v_mfma_f32_16x16x32_bf16 v[38:41], a[104:107], a[32:35], v[38:41]// 000000007988: D3B50026 1C9A4168
	v_mul_f32_e32 v64, v16, v64                                // 000000007990: 0A808110
	v_mul_f32_e32 v65, v16, v65                                // 000000007994: 0A828310
	ds_read_b64_tr_b16 a[168:169], v10 offset:3072             // 000000007998: DBC60C00 A800000A
	ds_read_b64_tr_b16 a[170:171], v10 offset:3328             // 0000000079A0: DBC60D00 AA00000A
	v_mfma_f32_16x16x32_bf16 v[38:41], a[108:111], a[36:39], v[38:41]// 0000000079A8: D3B50026 1C9A496C
	v_mul_f32_e32 v66, v16, v66                                // 0000000079B0: 0A848510
	v_mul_f32_e32 v67, v16, v67                                // 0000000079B4: 0A868710
	ds_read_b64_tr_b16 a[172:173], v11 offset:3072             // 0000000079B8: DBC60C00 AC00000B
	ds_read_b64_tr_b16 a[174:175], v11 offset:3328             // 0000000079C0: DBC60D00 AE00000B
	v_mfma_f32_16x16x32_bf16 v[38:41], a[112:115], a[40:43], v[38:41]// 0000000079C8: D3B50026 1C9A5170
	v_mul_f32_e32 v68, v16, v68                                // 0000000079D0: 0A888910
	v_mul_f32_e32 v69, v16, v69                                // 0000000079D4: 0A8A8B10
	ds_read_b64_tr_b16 a[176:177], v10 offset:4096             // 0000000079D8: DBC61000 B000000A
	ds_read_b64_tr_b16 a[178:179], v10 offset:4352             // 0000000079E0: DBC61100 B200000A
	v_mfma_f32_16x16x32_bf16 v[38:41], a[116:119], a[44:47], v[38:41]// 0000000079E8: D3B50026 1C9A5974
	buffer_load_dwordx4 v32, s[20:23], 0 offen offset:448 lds  // 0000000079F0: E05D11C0 80050020
	s_add_i32 m0, m0, 0x3c0                                    // 0000000079F8: 817CFF7C 000003C0
	v_mul_f32_e32 v70, v16, v70                                // 000000007A00: 0A8C8D10
	v_mul_f32_e32 v71, v16, v71                                // 000000007A04: 0A8E8F10
	v_mfma_f32_16x16x32_bf16 v[38:41], a[120:123], a[48:51], v[38:41]// 000000007A08: D3B50026 1C9A6178
	v_mul_f32_e32 v72, v16, v72                                // 000000007A10: 0A909110
	v_mul_f32_e32 v73, v16, v73                                // 000000007A14: 0A929310
	ds_read_b64_tr_b16 a[180:181], v11 offset:4096             // 000000007A18: DBC61000 B400000B
	ds_read_b64_tr_b16 a[182:183], v11 offset:4352             // 000000007A20: DBC61100 B600000B
	v_mfma_f32_16x16x32_bf16 v[38:41], a[124:127], a[52:55], v[38:41]// 000000007A28: D3B50026 1C9A697C
	v_mul_f32_e32 v74, v16, v74                                // 000000007A30: 0A949510
	v_mul_f32_e32 v75, v16, v75                                // 000000007A34: 0A969710
	ds_read_b64_tr_b16 a[184:185], v10 offset:5120             // 000000007A38: DBC61400 B800000A
	ds_read_b64_tr_b16 a[186:187], v10 offset:5376             // 000000007A40: DBC61500 BA00000A
	v_mfma_f32_16x16x32_bf16 v[38:41], a[128:131], a[56:59], v[38:41]// 000000007A48: D3B50026 1C9A7180
	v_mul_f32_e32 v76, v16, v76                                // 000000007A50: 0A989910
	v_mul_f32_e32 v77, v16, v77                                // 000000007A54: 0A9A9B10
	ds_read_b64_tr_b16 a[188:189], v11 offset:5120             // 000000007A58: DBC61400 BC00000B
	ds_read_b64_tr_b16 a[190:191], v11 offset:5376             // 000000007A60: DBC61500 BE00000B
	v_mfma_f32_16x16x32_bf16 v[38:41], a[132:135], a[60:63], v[38:41]// 000000007A68: D3B50026 1C9A7984
	buffer_load_dwordx4 v32, s[20:23], 0 offen offset:512 lds  // 000000007A70: E05D1200 80050020
	s_add_i32 m0, m0, 0x3c0                                    // 000000007A78: 817CFF7C 000003C0
	v_mfma_f32_16x16x32_bf16 v[38:41], a[136:139], a[64:67], v[38:41]// 000000007A80: D3B50026 1C9A8188
	v_mul_f32_e32 v78, v16, v78                                // 000000007A88: 0A9C9D10
	v_mul_f32_e32 v79, v16, v79                                // 000000007A8C: 0A9E9F10
	ds_read_b64_tr_b16 a[192:193], v10 offset:6144             // 000000007A90: DBC61800 C000000A
	ds_read_b64_tr_b16 a[194:195], v10 offset:6400             // 000000007A98: DBC61900 C200000A
	ds_read_b64_tr_b16 a[196:197], v11 offset:6144             // 000000007AA0: DBC61800 C400000B
	ds_read_b64_tr_b16 a[198:199], v11 offset:6400             // 000000007AA8: DBC61900 C600000B
	ds_read_b64_tr_b16 a[200:201], v10 offset:7168             // 000000007AB0: DBC61C00 C800000A
	ds_read_b64_tr_b16 a[202:203], v10 offset:7424             // 000000007AB8: DBC61D00 CA00000A
	ds_read_b64_tr_b16 a[204:205], v11 offset:7168             // 000000007AC0: DBC61C00 CC00000B
	ds_read_b64_tr_b16 a[206:207], v11 offset:7424             // 000000007AC8: DBC61D00 CE00000B
	v_mov_b32_e32 v30, v16                                     // 000000007AD0: 7E3C0310
	v_mov_b32_e32 v31, v16                                     // 000000007AD4: 7E3E0310
	v_pk_mul_f32 v[80:81], v[30:31], v[80:81]                  // 000000007AD8: D3B14050 1802A11E
	v_pk_mul_f32 v[82:83], v[30:31], v[82:83]                  // 000000007AE0: D3B14052 1802A51E
	v_pk_mul_f32 v[84:85], v[30:31], v[84:85]                  // 000000007AE8: D3B14054 1802A91E
	v_pk_mul_f32 v[86:87], v[30:31], v[86:87]                  // 000000007AF0: D3B14056 1802AD1E
	v_pk_mul_f32 v[88:89], v[30:31], v[88:89]                  // 000000007AF8: D3B14058 1802B11E
	v_pk_mul_f32 v[90:91], v[30:31], v[90:91]                  // 000000007B00: D3B1405A 1802B51E
	v_pk_mul_f32 v[92:93], v[30:31], v[92:93]                  // 000000007B08: D3B1405C 1802B91E
	v_pk_mul_f32 v[94:95], v[30:31], v[94:95]                  // 000000007B10: D3B1405E 1802BD1E
	v_pk_mul_f32 v[96:97], v[30:31], v[96:97]                  // 000000007B18: D3B14060 1802C11E
	v_pk_mul_f32 v[98:99], v[30:31], v[98:99]                  // 000000007B20: D3B14062 1802C51E
	v_pk_mul_f32 v[100:101], v[30:31], v[100:101]              // 000000007B28: D3B14064 1802C91E
	v_pk_mul_f32 v[102:103], v[30:31], v[102:103]              // 000000007B30: D3B14066 1802CD1E
	v_pk_mul_f32 v[104:105], v[30:31], v[104:105]              // 000000007B38: D3B14068 1802D11E
	v_pk_mul_f32 v[106:107], v[30:31], v[106:107]              // 000000007B40: D3B1406A 1802D51E
	v_pk_mul_f32 v[108:109], v[30:31], v[108:109]              // 000000007B48: D3B1406C 1802D91E
	v_pk_mul_f32 v[110:111], v[30:31], v[110:111]              // 000000007B50: D3B1406E 1802DD1E
	v_pk_mul_f32 v[112:113], v[30:31], v[112:113]              // 000000007B58: D3B14070 1802E11E
	v_pk_mul_f32 v[114:115], v[30:31], v[114:115]              // 000000007B60: D3B14072 1802E51E
	v_pk_mul_f32 v[116:117], v[30:31], v[116:117]              // 000000007B68: D3B14074 1802E91E
	v_pk_mul_f32 v[118:119], v[30:31], v[118:119]              // 000000007B70: D3B14076 1802ED1E
	v_pk_mul_f32 v[120:121], v[30:31], v[120:121]              // 000000007B78: D3B14078 1802F11E
	v_pk_mul_f32 v[122:123], v[30:31], v[122:123]              // 000000007B80: D3B1407A 1802F51E
	v_pk_mul_f32 v[124:125], v[30:31], v[124:125]              // 000000007B88: D3B1407C 1802F91E
	v_pk_mul_f32 v[126:127], v[30:31], v[126:127]              // 000000007B90: D3B1407E 1802FD1E
	v_pk_mul_f32 v[128:129], v[30:31], v[128:129]              // 000000007B98: D3B14080 1803011E
	v_pk_mul_f32 v[130:131], v[30:31], v[130:131]              // 000000007BA0: D3B14082 1803051E
	v_pk_mul_f32 v[132:133], v[30:31], v[132:133]              // 000000007BA8: D3B14084 1803091E
	v_pk_mul_f32 v[134:135], v[30:31], v[134:135]              // 000000007BB0: D3B14086 18030D1E
	v_pk_mul_f32 v[136:137], v[30:31], v[136:137]              // 000000007BB8: D3B14088 1803111E
	v_pk_mul_f32 v[138:139], v[30:31], v[138:139]              // 000000007BC0: D3B1408A 1803151E
	v_pk_mul_f32 v[140:141], v[30:31], v[140:141]              // 000000007BC8: D3B1408C 1803191E
	v_pk_mul_f32 v[142:143], v[30:31], v[142:143]              // 000000007BD0: D3B1408E 18031D1E
	v_pk_mul_f32 v[144:145], v[30:31], v[144:145]              // 000000007BD8: D3B14090 1803211E
	v_pk_mul_f32 v[146:147], v[30:31], v[146:147]              // 000000007BE0: D3B14092 1803251E
	v_pk_mul_f32 v[148:149], v[30:31], v[148:149]              // 000000007BE8: D3B14094 1803291E
	v_pk_mul_f32 v[150:151], v[30:31], v[150:151]              // 000000007BF0: D3B14096 18032D1E
	v_pk_mul_f32 v[152:153], v[30:31], v[152:153]              // 000000007BF8: D3B14098 1803311E
	v_pk_mul_f32 v[154:155], v[30:31], v[154:155]              // 000000007C00: D3B1409A 1803351E
	v_pk_mul_f32 v[156:157], v[30:31], v[156:157]              // 000000007C08: D3B1409C 1803391E
	v_pk_mul_f32 v[158:159], v[30:31], v[158:159]              // 000000007C10: D3B1409E 18033D1E
	v_pk_mul_f32 v[160:161], v[30:31], v[160:161]              // 000000007C18: D3B140A0 1803411E
	v_pk_mul_f32 v[162:163], v[30:31], v[162:163]              // 000000007C20: D3B140A2 1803451E
	v_pk_mul_f32 v[164:165], v[30:31], v[164:165]              // 000000007C28: D3B140A4 1803491E
	v_pk_mul_f32 v[166:167], v[30:31], v[166:167]              // 000000007C30: D3B140A6 18034D1E
	v_pk_mul_f32 v[168:169], v[30:31], v[168:169]              // 000000007C38: D3B140A8 1803511E
	v_pk_mul_f32 v[170:171], v[30:31], v[170:171]              // 000000007C40: D3B140AA 1803551E
	v_pk_mul_f32 v[172:173], v[30:31], v[172:173]              // 000000007C48: D3B140AC 1803591E
	v_pk_mul_f32 v[174:175], v[30:31], v[174:175]              // 000000007C50: D3B140AE 18035D1E
	v_pk_mul_f32 v[176:177], v[30:31], v[176:177]              // 000000007C58: D3B140B0 1803611E
	v_mfma_f32_16x16x32_bf16 v[38:41], a[140:143], a[68:71], v[38:41]// 000000007C60: D3B50026 1C9A898C
	s_addk_i32 s70, 0x1                                        // 000000007C68: B7460001
	s_cmp_lt_i32 s70, s71                                      // 000000007C6C: BF044746
	s_cbranch_scc0 label_3B18                                  // 000000007C70: BF84F8E9
	s_waitcnt lgkmcnt(0)                                       // 000000007C74: BF8CC07F
	v_mul_u32_u24_e64 v32, v25, s68                            // 000000007C78: D1080020 00008919
	v_add_u32_e32 v32, v32, v1                                 // 000000007C80: 68400320
	v_mfma_f32_16x16x32_bf16 v[50:53], a[144:147], v[42:45], v[50:53]// 000000007C84: D3B50032 0CCA5590
	v_mov_b32_e32 v29, v34                                     // 000000007C8C: 7E3A0322
	v_max3_f32 v29, v34, v35, v29                              // 000000007C90: D1D3001D 04764722
	v_mfma_f32_16x16x32_bf16 v[54:57], a[148:151], v[42:45], v[54:57]// 000000007C98: D3B50036 0CDA5594
	ds_read_b64_tr_b16 a[144:145], v10 offset:8192             // 000000007CA0: DBC62000 9000000A
	ds_read_b64_tr_b16 a[146:147], v10 offset:8448             // 000000007CA8: DBC62100 9200000A
	v_mfma_f32_16x16x32_bf16 v[58:61], a[152:155], v[42:45], v[58:61]// 000000007CB0: D3B5003A 0CEA5598
	v_max3_f32 v29, v36, v37, v29                              // 000000007CB8: D1D3001D 04764B24
	v_max3_f32 v29, v38, v39, v29                              // 000000007CC0: D1D3001D 04764F26
	v_mfma_f32_16x16x32_bf16 v[62:65], a[156:159], v[42:45], v[62:65]// 000000007CC8: D3B5003E 0CFA559C
	ds_read_b64_tr_b16 a[148:149], v11 offset:8192             // 000000007CD0: DBC62000 9400000B
	ds_read_b64_tr_b16 a[150:151], v11 offset:8448             // 000000007CD8: DBC62100 9600000B
	v_mfma_f32_16x16x32_bf16 v[66:69], a[160:163], v[42:45], v[66:69]// 000000007CE0: D3B50042 0D0A55A0
	v_max3_f32 v29, v40, v41, v29                              // 000000007CE8: D1D3001D 04765328
	v_mov_b32_e32 v28, v29                                     // 000000007CF0: 7E38031D
	v_mfma_f32_16x16x32_bf16 v[70:73], a[164:167], v[42:45], v[70:73]// 000000007CF4: D3B50046 0D1A55A4
	ds_read_b64_tr_b16 a[152:153], v10 offset:9216             // 000000007CFC: DBC62400 9800000A
	ds_read_b64_tr_b16 a[154:155], v10 offset:9472             // 000000007D04: DBC62500 9A00000A
	v_mfma_f32_16x16x32_bf16 v[74:77], a[168:171], v[42:45], v[74:77]// 000000007D0C: D3B5004A 0D2A55A8
	v_mov_b32_e32 v29, v29                                     // 000000007D14: 7E3A031D
	s_nop 1                                                    // 000000007D18: BF800001
	v_mfma_f32_16x16x32_bf16 v[78:81], a[172:175], v[42:45], v[78:81]// 000000007D1C: D3B5004E 0D3A55AC
	ds_read_b64_tr_b16 a[156:157], v11 offset:9216             // 000000007D24: DBC62400 9C00000B
	ds_read_b64_tr_b16 a[158:159], v11 offset:9472             // 000000007D2C: DBC62500 9E00000B
	v_mfma_f32_16x16x32_bf16 v[82:85], a[176:179], v[42:45], v[82:85]// 000000007D34: D3B50052 0D4A55B0
	v_permlane16_swap_b32_e32 v28, v29                         // 000000007D3C: 7E38B31D
	v_mfma_f32_16x16x32_bf16 v[86:89], a[180:183], v[42:45], v[86:89]// 000000007D40: D3B50056 0D5A55B4
	ds_read_b64_tr_b16 a[160:161], v10 offset:10240            // 000000007D48: DBC62800 A000000A
	ds_read_b64_tr_b16 a[162:163], v10 offset:10496            // 000000007D50: DBC62900 A200000A
	v_mfma_f32_16x16x32_bf16 v[90:93], a[184:187], v[42:45], v[90:93]// 000000007D58: D3B5005A 0D6A55B8
	v_mov_b32_e32 v31, v28                                     // 000000007D60: 7E3E031C
	v_mov_b32_e32 v30, v29                                     // 000000007D64: 7E3C031D
	v_mfma_f32_16x16x32_bf16 v[94:97], a[188:191], v[42:45], v[94:97]// 000000007D68: D3B5005E 0D7A55BC
	ds_read_b64_tr_b16 a[164:165], v11 offset:10240            // 000000007D70: DBC62800 A400000B
	ds_read_b64_tr_b16 a[166:167], v11 offset:10496            // 000000007D78: DBC62900 A600000B
	v_mfma_f32_16x16x32_bf16 v[98:101], a[192:195], v[42:45], v[98:101]// 000000007D80: D3B50062 0D8A55C0
	s_nop 1                                                    // 000000007D88: BF800001
	v_permlane32_swap_b32_e32 v28, v29                         // 000000007D8C: 7E38B51D
	v_mfma_f32_16x16x32_bf16 v[102:105], a[196:199], v[42:45], v[102:105]// 000000007D90: D3B50066 0D9A55C4
	ds_read_b64_tr_b16 a[168:169], v10 offset:11264            // 000000007D98: DBC62C00 A800000A
	ds_read_b64_tr_b16 a[170:171], v10 offset:11520            // 000000007DA0: DBC62D00 AA00000A
	v_mfma_f32_16x16x32_bf16 v[106:109], a[200:203], v[42:45], v[106:109]// 000000007DA8: D3B5006A 0DAA55C8
	v_permlane32_swap_b32_e32 v30, v31                         // 000000007DB0: 7E3CB51F
	v_mfma_f32_16x16x32_bf16 v[110:113], a[204:207], v[42:45], v[110:113]// 000000007DB4: D3B5006E 0DBA55CC
	ds_read_b64_tr_b16 a[172:173], v11 offset:11264            // 000000007DBC: DBC62C00 AC00000B
	ds_read_b64_tr_b16 a[174:175], v11 offset:11520            // 000000007DC4: DBC62D00 AE00000B
	ds_read_b64_tr_b16 a[176:177], v10 offset:12288            // 000000007DCC: DBC63000 B000000A
	ds_read_b64_tr_b16 a[178:179], v10 offset:12544            // 000000007DD4: DBC63100 B200000A
	ds_read_b64_tr_b16 a[180:181], v11 offset:12288            // 000000007DDC: DBC63000 B400000B
	ds_read_b64_tr_b16 a[182:183], v11 offset:12544            // 000000007DE4: DBC63100 B600000B
	ds_read_b64_tr_b16 a[184:185], v10 offset:13312            // 000000007DEC: DBC63400 B800000A
	ds_read_b64_tr_b16 a[186:187], v10 offset:13568            // 000000007DF4: DBC63500 BA00000A
	ds_read_b64_tr_b16 a[188:189], v11 offset:13312            // 000000007DFC: DBC63400 BC00000B
	ds_read_b64_tr_b16 a[190:191], v11 offset:13568            // 000000007E04: DBC63500 BE00000B
	s_waitcnt lgkmcnt(0)                                       // 000000007E0C: BF8CC07F
	v_mfma_f32_16x16x32_bf16 v[114:117], a[144:147], v[42:45], v[114:117]// 000000007E10: D3B50072 0DCA5590
	ds_read_b64_tr_b16 a[192:193], v10 offset:14336            // 000000007E18: DBC63800 C000000A
	ds_read_b64_tr_b16 a[194:195], v10 offset:14592            // 000000007E20: DBC63900 C200000A
	v_mfma_f32_16x16x32_bf16 v[118:121], a[148:151], v[42:45], v[118:121]// 000000007E28: D3B50076 0DDA5594
	s_waitcnt vmcnt(10)                                        // 000000007E30: BF8C0F7A
	s_barrier                                                  // 000000007E34: BF8A0000
	ds_read_b128 a[72:75], v21                                 // 000000007E38: DBFE0000 48000015
	ds_read_b128 a[76:79], v21 offset:1024                     // 000000007E40: DBFE0400 4C000015
	v_mfma_f32_16x16x32_bf16 v[122:125], a[152:155], v[42:45], v[122:125]// 000000007E48: D3B5007A 0DEA5598
	ds_read_b64_tr_b16 a[196:197], v11 offset:14336            // 000000007E50: DBC63800 C400000B
	ds_read_b64_tr_b16 a[198:199], v11 offset:14592            // 000000007E58: DBC63900 C600000B
	v_mfma_f32_16x16x32_bf16 v[126:129], a[156:159], v[42:45], v[126:129]// 000000007E60: D3B5007E 0DFA559C
	ds_read_b128 a[80:83], v21 offset:2048                     // 000000007E68: DBFE0800 50000015
	ds_read_b128 a[84:87], v21 offset:3072                     // 000000007E70: DBFE0C00 54000015
	v_mfma_f32_16x16x32_bf16 v[130:133], a[160:163], v[42:45], v[130:133]// 000000007E78: D3B50082 0E0A55A0
	ds_read_b64_tr_b16 a[200:201], v10 offset:15360            // 000000007E80: DBC63C00 C800000A
	ds_read_b64_tr_b16 a[202:203], v10 offset:15616            // 000000007E88: DBC63D00 CA00000A
	v_mfma_f32_16x16x32_bf16 v[134:137], a[164:167], v[42:45], v[134:137]// 000000007E90: D3B50086 0E1A55A4
	ds_read_b128 a[88:91], v21 offset:4096                     // 000000007E98: DBFE1000 58000015
	ds_read_b128 a[92:95], v21 offset:5120                     // 000000007EA0: DBFE1400 5C000015
	v_mfma_f32_16x16x32_bf16 v[138:141], a[168:171], v[42:45], v[138:141]// 000000007EA8: D3B5008A 0E2A55A8
	ds_read_b64_tr_b16 a[204:205], v11 offset:15360            // 000000007EB0: DBC63C00 CC00000B
	ds_read_b64_tr_b16 a[206:207], v11 offset:15616            // 000000007EB8: DBC63D00 CE00000B
	v_mfma_f32_16x16x32_bf16 v[142:145], a[172:175], v[42:45], v[142:145]// 000000007EC0: D3B5008E 0E3A55AC
	ds_read_b128 a[96:99], v21 offset:6144                     // 000000007EC8: DBFE1800 60000015
	ds_read_b128 a[100:103], v21 offset:7168                   // 000000007ED0: DBFE1C00 64000015
	v_mfma_f32_16x16x32_bf16 v[146:149], a[176:179], v[42:45], v[146:149]// 000000007ED8: D3B50092 0E4A55B0
	v_max3_f32 v29, v28, v29, v29                              // 000000007EE0: D1D3001D 04763B1C
	v_max3_f32 v29, v30, v31, v29                              // 000000007EE8: D1D3001D 04763F1E
	v_mfma_f32_16x16x32_bf16 v[150:153], a[180:183], v[42:45], v[150:153]// 000000007EF0: D3B50096 0E5A55B4
	ds_read_b128 a[104:107], v21 offset:8192                   // 000000007EF8: DBFE2000 68000015
	ds_read_b128 a[108:111], v21 offset:9216                   // 000000007F00: DBFE2400 6C000015
	v_mfma_f32_16x16x32_bf16 v[154:157], a[184:187], v[42:45], v[154:157]// 000000007F08: D3B5009A 0E6A55B8
	v_mov_b32_e32 v28, 0xff800000                              // 000000007F10: 7E3802FF FF800000
	v_cmp_eq_u32_e64 s[36:37], v28, v2                         // 000000007F18: D0CA0024 0002051C
	v_mfma_f32_16x16x32_bf16 v[158:161], a[188:191], v[42:45], v[158:161]// 000000007F20: D3B5009E 0E7A55BC
	ds_read_b128 a[112:115], v21 offset:10240                  // 000000007F28: DBFE2800 70000015
	ds_read_b128 a[116:119], v21 offset:11264                  // 000000007F30: DBFE2C00 74000015
	v_mfma_f32_16x16x32_bf16 v[162:165], a[192:195], v[42:45], v[162:165]// 000000007F38: D3B500A2 0E8A55C0
	v_max_f32_e32 v29, v29, v2                                 // 000000007F40: 163A051D
	v_sub_f32_e32 v16, v2, v29                                 // 000000007F44: 04203B02
	v_mfma_f32_16x16x32_bf16 v[166:169], a[196:199], v[42:45], v[166:169]// 000000007F48: D3B500A6 0E9A55C4
	ds_read_b128 a[120:123], v21 offset:12288                  // 000000007F50: DBFE3000 78000015
	ds_read_b128 a[124:127], v21 offset:13312                  // 000000007F58: DBFE3400 7C000015
	v_mfma_f32_16x16x32_bf16 v[170:173], a[200:203], v[42:45], v[170:173]// 000000007F60: D3B500AA 0EAA55C8
	v_cndmask_b32_e64 v16, v16, 0, s[36:37]                    // 000000007F68: D1000010 00910110
	v_mov_b32_e32 v2, v29                                      // 000000007F70: 7E04031D
	v_mfma_f32_16x16x32_bf16 v[174:177], a[204:207], v[42:45], v[174:177]// 000000007F74: D3B500AE 0EBA55CC
	ds_read_b128 a[128:131], v21 offset:14336                  // 000000007F7C: DBFE3800 80000015
	ds_read_b128 a[132:135], v21 offset:15360                  // 000000007F84: DBFE3C00 84000015
	ds_read_b128 a[136:139], v21 offset:16384                  // 000000007F8C: DBFE4000 88000015
	ds_read_b128 a[140:143], v21 offset:17408                  // 000000007F94: DBFE4400 8C000015
	s_waitcnt lgkmcnt(0)                                       // 000000007F9C: BF8CC07F
	v_mfma_f32_16x16x32_bf16 v[42:45], a[72:75], a[0:3], 0     // 000000007FA0: D3B5002A 1A020148
	buffer_load_dword v23, v26, s[24:27], 0 offen              // 000000007FA8: E0501000 8006171A
	v_mul_f32_e32 v29, s5, v29                                 // 000000007FB0: 0A3A3A05
	s_mov_b32 s56, 0xb000                                      // 000000007FB4: BEB800FF 0000B000
	s_mul_i32 s57, s7, 0x2400                                  // 000000007FBC: 9239FF07 00002400
	s_add_u32 m0, s56, s57                                     // 000000007FC4: 807C3938
	buffer_load_dwordx4 v32, s[20:23], 0 offen lds             // 000000007FC8: E05D1000 80050020
	s_add_i32 m0, m0, 0x3c0                                    // 000000007FD0: 817CFF7C 000003C0
	v_mfma_f32_16x16x32_bf16 v[42:45], a[76:79], a[4:7], v[42:45]// 000000007FD8: D3B5002A 1CAA094C
	buffer_load_dwordx4 v32, s[20:23], 0 offen offset:64 lds   // 000000007FE0: E05D1040 80050020
	s_add_i32 m0, m0, 0x3c0                                    // 000000007FE8: 817CFF7C 000003C0
	v_mfma_f32_16x16x32_bf16 v[42:45], a[80:83], a[8:11], v[42:45]// 000000007FF0: D3B5002A 1CAA1150
	v_mul_f32_e32 v16, s5, v16                                 // 000000007FF8: 0A202005
	v_exp_f32_e32 v16, v16                                     // 000000007FFC: 7E204110
	v_mfma_f32_16x16x32_bf16 v[42:45], a[84:87], a[12:15], v[42:45]// 000000008000: D3B5002A 1CAA1954
	v_add_u32_e32 v26, s73, v26                                // 000000008008: 68343449
	ds_read_b128 a[72:75], v21 offset:18432                    // 00000000800C: DBFE4800 48000015
	ds_read_b128 a[76:79], v21 offset:19456                    // 000000008014: DBFE4C00 4C000015
	v_fma_f32 v34, v34, s5, -v29                               // 00000000801C: D1CB0022 84740B22
	v_mfma_f32_16x16x32_bf16 v[42:45], a[88:91], a[16:19], v[42:45]// 000000008024: D3B5002A 1CAA2158
	ds_read_b128 a[80:83], v21 offset:20480                    // 00000000802C: DBFE5000 50000015
	ds_read_b128 a[84:87], v21 offset:21504                    // 000000008034: DBFE5400 54000015
	v_fma_f32 v35, v35, s5, -v29                               // 00000000803C: D1CB0023 84740B23
	v_mfma_f32_16x16x32_bf16 v[42:45], a[92:95], a[20:23], v[42:45]// 000000008044: D3B5002A 1CAA295C
	buffer_load_dwordx4 v32, s[20:23], 0 offen offset:128 lds  // 00000000804C: E05D1080 80050020
	s_add_i32 m0, m0, 0x3c0                                    // 000000008054: 817CFF7C 000003C0
	v_mfma_f32_16x16x32_bf16 v[42:45], a[96:99], a[24:27], v[42:45]// 00000000805C: D3B5002A 1CAA3160
	v_fma_f32 v36, v36, s5, -v29                               // 000000008064: D1CB0024 84740B24
	v_fma_f32 v37, v37, s5, -v29                               // 00000000806C: D1CB0025 84740B25
	v_mfma_f32_16x16x32_bf16 v[42:45], a[100:103], a[28:31], v[42:45]// 000000008074: D3B5002A 1CAA3964
	ds_read_b128 a[88:91], v21 offset:22528                    // 00000000807C: DBFE5800 58000015
	ds_read_b128 a[92:95], v21 offset:23552                    // 000000008084: DBFE5C00 5C000015
	v_fma_f32 v38, v38, s5, -v29                               // 00000000808C: D1CB0026 84740B26
	v_mfma_f32_16x16x32_bf16 v[42:45], a[104:107], a[32:35], v[42:45]// 000000008094: D3B5002A 1CAA4168
	ds_read_b128 a[96:99], v21 offset:24576                    // 00000000809C: DBFE6000 60000015
	ds_read_b128 a[100:103], v21 offset:25600                  // 0000000080A4: DBFE6400 64000015
	v_fma_f32 v39, v39, s5, -v29                               // 0000000080AC: D1CB0027 84740B27
	v_mfma_f32_16x16x32_bf16 v[42:45], a[108:111], a[36:39], v[42:45]// 0000000080B4: D3B5002A 1CAA496C
	buffer_load_dwordx4 v32, s[20:23], 0 offen offset:192 lds  // 0000000080BC: E05D10C0 80050020
	s_add_i32 m0, m0, 0x3c0                                    // 0000000080C4: 817CFF7C 000003C0
	v_mfma_f32_16x16x32_bf16 v[42:45], a[112:115], a[40:43], v[42:45]// 0000000080CC: D3B5002A 1CAA5170
	v_fma_f32 v40, v40, s5, -v29                               // 0000000080D4: D1CB0028 84740B28
	v_fma_f32 v41, v41, s5, -v29                               // 0000000080DC: D1CB0029 84740B29
	v_mfma_f32_16x16x32_bf16 v[42:45], a[116:119], a[44:47], v[42:45]// 0000000080E4: D3B5002A 1CAA5974
	v_exp_f32_e32 v34, v34                                     // 0000000080EC: 7E444122
	v_mfma_f32_16x16x32_bf16 v[42:45], a[120:123], a[48:51], v[42:45]// 0000000080F0: D3B5002A 1CAA6178
	ds_read_b128 a[104:107], v21 offset:26624                  // 0000000080F8: DBFE6800 68000015
	ds_read_b128 a[108:111], v21 offset:27648                  // 000000008100: DBFE6C00 6C000015
	v_exp_f32_e32 v35, v35                                     // 000000008108: 7E464123
	v_mfma_f32_16x16x32_bf16 v[42:45], a[124:127], a[52:55], v[42:45]// 00000000810C: D3B5002A 1CAA697C
	buffer_load_dwordx4 v32, s[20:23], 0 offen offset:256 lds  // 000000008114: E05D1100 80050020
	s_add_i32 m0, m0, 0x3c0                                    // 00000000811C: 817CFF7C 000003C0
	v_mfma_f32_16x16x32_bf16 v[42:45], a[128:131], a[56:59], v[42:45]// 000000008124: D3B5002A 1CAA7180
	v_exp_f32_e32 v36, v36                                     // 00000000812C: 7E484124
	v_mfma_f32_16x16x32_bf16 v[42:45], a[132:135], a[60:63], v[42:45]// 000000008130: D3B5002A 1CAA7984
	ds_read_b128 a[112:115], v21 offset:28672                  // 000000008138: DBFE7000 70000015
	ds_read_b128 a[116:119], v21 offset:29696                  // 000000008140: DBFE7400 74000015
	v_exp_f32_e32 v37, v37                                     // 000000008148: 7E4A4125
	v_mfma_f32_16x16x32_bf16 v[42:45], a[136:139], a[64:67], v[42:45]// 00000000814C: D3B5002A 1CAA8188
	ds_read_b128 a[120:123], v21 offset:30720                  // 000000008154: DBFE7800 78000015
	ds_read_b128 a[124:127], v21 offset:31744                  // 00000000815C: DBFE7C00 7C000015
	v_exp_f32_e32 v38, v38                                     // 000000008164: 7E4C4126
	v_mfma_f32_16x16x32_bf16 v[42:45], a[140:143], a[68:71], v[42:45]// 000000008168: D3B5002A 1CAA898C
	ds_read_b128 a[128:131], v21 offset:32768                  // 000000008170: DBFE8000 80000015
	ds_read_b128 a[132:135], v21 offset:33792                  // 000000008178: DBFE8400 84000015
	v_exp_f32_e32 v39, v39                                     // 000000008180: 7E4E4127
	ds_read_b128 a[136:139], v21 offset:34816                  // 000000008184: DBFE8800 88000015
	ds_read_b128 a[140:143], v21 offset:35840                  // 00000000818C: DBFE8C00 8C000015
	v_exp_f32_e32 v40, v40                                     // 000000008194: 7E504128
	v_exp_f32_e32 v41, v41                                     // 000000008198: 7E524129
	v_mul_f32_e32 v4, v16, v4                                  // 00000000819C: 0A080910
	v_mov_b32_e32 v28, v34                                     // 0000000081A0: 7E380322
	v_add_f32_e32 v28, v35, v28                                // 0000000081A4: 02383923
	v_add_f32_e32 v28, v36, v28                                // 0000000081A8: 02383924
	v_add_f32_e32 v28, v37, v28                                // 0000000081AC: 02383925
	v_add_f32_e32 v28, v38, v28                                // 0000000081B0: 02383926
	v_add_f32_e32 v28, v39, v28                                // 0000000081B4: 02383927
	v_add_f32_e32 v28, v40, v28                                // 0000000081B8: 02383928
	v_add_f32_e32 v28, v41, v28                                // 0000000081BC: 02383929
	v_add_f32_e32 v4, v28, v4                                  // 0000000081C0: 0208091C
	v_cvt_pk_bf16_f32 v34, v34, v35                            // 0000000081C4: D2680022 00024722
	v_cvt_pk_bf16_f32 v35, v36, v37                            // 0000000081CC: D2680023 00024B24
	v_cvt_pk_bf16_f32 v36, v38, v39                            // 0000000081D4: D2680024 00024F26
	v_cvt_pk_bf16_f32 v37, v40, v41                            // 0000000081DC: D2680025 00025328
	s_nop 0                                                    // 0000000081E4: BF800000
	v_permlane32_swap_b32_e32 v34, v36                         // 0000000081E8: 7E44B524
	v_permlane32_swap_b32_e32 v35, v37                         // 0000000081EC: 7E46B525
	s_nop 0                                                    // 0000000081F0: BF800000
	v_permlane16_swap_b32_e32 v34, v36                         // 0000000081F4: 7E44B324
	v_permlane16_swap_b32_e32 v35, v37                         // 0000000081F8: 7E46B325
	s_waitcnt lgkmcnt(0)                                       // 0000000081FC: BF8CC07F
	v_mfma_f32_16x16x32_bf16 v[46:49], a[72:75], a[0:3], 0     // 000000008200: D3B5002E 1A020148
	v_mul_f32_e32 v50, v16, v50                                // 000000008208: 0A646510
	v_mul_f32_e32 v51, v16, v51                                // 00000000820C: 0A666710
	ds_read_b64_tr_b16 a[144:145], v12                         // 000000008210: DBC60000 9000000C
	ds_read_b64_tr_b16 a[146:147], v12 offset:256              // 000000008218: DBC60100 9200000C
	v_mfma_f32_16x16x32_bf16 v[46:49], a[76:79], a[4:7], v[46:49]// 000000008220: D3B5002E 1CBA094C
	buffer_load_dwordx4 v32, s[20:23], 0 offen offset:320 lds  // 000000008228: E05D1140 80050020
	s_add_i32 m0, m0, 0x3c0                                    // 000000008230: 817CFF7C 000003C0
	v_mul_f32_e32 v52, v16, v52                                // 000000008238: 0A686910
	v_mul_f32_e32 v53, v16, v53                                // 00000000823C: 0A6A6B10
	v_mfma_f32_16x16x32_bf16 v[46:49], a[80:83], a[8:11], v[46:49]// 000000008240: D3B5002E 1CBA1150
	v_mul_f32_e32 v54, v16, v54                                // 000000008248: 0A6C6D10
	v_mul_f32_e32 v55, v16, v55                                // 00000000824C: 0A6E6F10
	ds_read_b64_tr_b16 a[148:149], v13                         // 000000008250: DBC60000 9400000D
	ds_read_b64_tr_b16 a[150:151], v13 offset:256              // 000000008258: DBC60100 9600000D
	v_mfma_f32_16x16x32_bf16 v[46:49], a[84:87], a[12:15], v[46:49]// 000000008260: D3B5002E 1CBA1954
	v_mul_f32_e32 v56, v16, v56                                // 000000008268: 0A707110
	v_mul_f32_e32 v57, v16, v57                                // 00000000826C: 0A727310
	ds_read_b64_tr_b16 a[152:153], v12 offset:1024             // 000000008270: DBC60400 9800000C
	ds_read_b64_tr_b16 a[154:155], v12 offset:1280             // 000000008278: DBC60500 9A00000C
	v_mfma_f32_16x16x32_bf16 v[46:49], a[88:91], a[16:19], v[46:49]// 000000008280: D3B5002E 1CBA2158
	v_mul_f32_e32 v58, v16, v58                                // 000000008288: 0A747510
	v_mul_f32_e32 v59, v16, v59                                // 00000000828C: 0A767710
	ds_read_b64_tr_b16 a[156:157], v13 offset:1024             // 000000008290: DBC60400 9C00000D
	ds_read_b64_tr_b16 a[158:159], v13 offset:1280             // 000000008298: DBC60500 9E00000D
	v_mfma_f32_16x16x32_bf16 v[46:49], a[92:95], a[20:23], v[46:49]// 0000000082A0: D3B5002E 1CBA295C
	v_mul_f32_e32 v60, v16, v60                                // 0000000082A8: 0A787910
	v_mul_f32_e32 v61, v16, v61                                // 0000000082AC: 0A7A7B10
	ds_read_b64_tr_b16 a[160:161], v12 offset:2048             // 0000000082B0: DBC60800 A000000C
	ds_read_b64_tr_b16 a[162:163], v12 offset:2304             // 0000000082B8: DBC60900 A200000C
	v_mfma_f32_16x16x32_bf16 v[46:49], a[96:99], a[24:27], v[46:49]// 0000000082C0: D3B5002E 1CBA3160
	v_mul_f32_e32 v62, v16, v62                                // 0000000082C8: 0A7C7D10
	v_mul_f32_e32 v63, v16, v63                                // 0000000082CC: 0A7E7F10
	ds_read_b64_tr_b16 a[164:165], v13 offset:2048             // 0000000082D0: DBC60800 A400000D
	ds_read_b64_tr_b16 a[166:167], v13 offset:2304             // 0000000082D8: DBC60900 A600000D
	v_mfma_f32_16x16x32_bf16 v[46:49], a[100:103], a[28:31], v[46:49]// 0000000082E0: D3B5002E 1CBA3964
	buffer_load_dwordx4 v32, s[20:23], 0 offen offset:384 lds  // 0000000082E8: E05D1180 80050020
	s_add_i32 m0, m0, 0x3c0                                    // 0000000082F0: 817CFF7C 000003C0
	v_mfma_f32_16x16x32_bf16 v[46:49], a[104:107], a[32:35], v[46:49]// 0000000082F8: D3B5002E 1CBA4168
	v_mul_f32_e32 v64, v16, v64                                // 000000008300: 0A808110
	v_mul_f32_e32 v65, v16, v65                                // 000000008304: 0A828310
	ds_read_b64_tr_b16 a[168:169], v12 offset:3072             // 000000008308: DBC60C00 A800000C
	ds_read_b64_tr_b16 a[170:171], v12 offset:3328             // 000000008310: DBC60D00 AA00000C
	v_mfma_f32_16x16x32_bf16 v[46:49], a[108:111], a[36:39], v[46:49]// 000000008318: D3B5002E 1CBA496C
	v_mul_f32_e32 v66, v16, v66                                // 000000008320: 0A848510
	v_mul_f32_e32 v67, v16, v67                                // 000000008324: 0A868710
	ds_read_b64_tr_b16 a[172:173], v13 offset:3072             // 000000008328: DBC60C00 AC00000D
	ds_read_b64_tr_b16 a[174:175], v13 offset:3328             // 000000008330: DBC60D00 AE00000D
	v_mfma_f32_16x16x32_bf16 v[46:49], a[112:115], a[40:43], v[46:49]// 000000008338: D3B5002E 1CBA5170
	v_mul_f32_e32 v68, v16, v68                                // 000000008340: 0A888910
	v_mul_f32_e32 v69, v16, v69                                // 000000008344: 0A8A8B10
	ds_read_b64_tr_b16 a[176:177], v12 offset:4096             // 000000008348: DBC61000 B000000C
	ds_read_b64_tr_b16 a[178:179], v12 offset:4352             // 000000008350: DBC61100 B200000C
	v_mfma_f32_16x16x32_bf16 v[46:49], a[116:119], a[44:47], v[46:49]// 000000008358: D3B5002E 1CBA5974
	buffer_load_dwordx4 v32, s[20:23], 0 offen offset:448 lds  // 000000008360: E05D11C0 80050020
	s_add_i32 m0, m0, 0x3c0                                    // 000000008368: 817CFF7C 000003C0
	v_mul_f32_e32 v70, v16, v70                                // 000000008370: 0A8C8D10
	v_mul_f32_e32 v71, v16, v71                                // 000000008374: 0A8E8F10
	v_mfma_f32_16x16x32_bf16 v[46:49], a[120:123], a[48:51], v[46:49]// 000000008378: D3B5002E 1CBA6178
	v_mul_f32_e32 v72, v16, v72                                // 000000008380: 0A909110
	v_mul_f32_e32 v73, v16, v73                                // 000000008384: 0A929310
	ds_read_b64_tr_b16 a[180:181], v13 offset:4096             // 000000008388: DBC61000 B400000D
	ds_read_b64_tr_b16 a[182:183], v13 offset:4352             // 000000008390: DBC61100 B600000D
	v_mfma_f32_16x16x32_bf16 v[46:49], a[124:127], a[52:55], v[46:49]// 000000008398: D3B5002E 1CBA697C
	v_mul_f32_e32 v74, v16, v74                                // 0000000083A0: 0A949510
	v_mul_f32_e32 v75, v16, v75                                // 0000000083A4: 0A969710
	ds_read_b64_tr_b16 a[184:185], v12 offset:5120             // 0000000083A8: DBC61400 B800000C
	ds_read_b64_tr_b16 a[186:187], v12 offset:5376             // 0000000083B0: DBC61500 BA00000C
	v_mfma_f32_16x16x32_bf16 v[46:49], a[128:131], a[56:59], v[46:49]// 0000000083B8: D3B5002E 1CBA7180
	v_mul_f32_e32 v76, v16, v76                                // 0000000083C0: 0A989910
	v_mul_f32_e32 v77, v16, v77                                // 0000000083C4: 0A9A9B10
	ds_read_b64_tr_b16 a[188:189], v13 offset:5120             // 0000000083C8: DBC61400 BC00000D
	ds_read_b64_tr_b16 a[190:191], v13 offset:5376             // 0000000083D0: DBC61500 BE00000D
	v_mfma_f32_16x16x32_bf16 v[46:49], a[132:135], a[60:63], v[46:49]// 0000000083D8: D3B5002E 1CBA7984
	buffer_load_dwordx4 v32, s[20:23], 0 offen offset:512 lds  // 0000000083E0: E05D1200 80050020
	s_add_i32 m0, m0, 0x3c0                                    // 0000000083E8: 817CFF7C 000003C0
	v_mfma_f32_16x16x32_bf16 v[46:49], a[136:139], a[64:67], v[46:49]// 0000000083F0: D3B5002E 1CBA8188
	v_mul_f32_e32 v78, v16, v78                                // 0000000083F8: 0A9C9D10
	v_mul_f32_e32 v79, v16, v79                                // 0000000083FC: 0A9E9F10
	ds_read_b64_tr_b16 a[192:193], v12 offset:6144             // 000000008400: DBC61800 C000000C
	ds_read_b64_tr_b16 a[194:195], v12 offset:6400             // 000000008408: DBC61900 C200000C
	ds_read_b64_tr_b16 a[196:197], v13 offset:6144             // 000000008410: DBC61800 C400000D
	ds_read_b64_tr_b16 a[198:199], v13 offset:6400             // 000000008418: DBC61900 C600000D
	ds_read_b64_tr_b16 a[200:201], v12 offset:7168             // 000000008420: DBC61C00 C800000C
	ds_read_b64_tr_b16 a[202:203], v12 offset:7424             // 000000008428: DBC61D00 CA00000C
	ds_read_b64_tr_b16 a[204:205], v13 offset:7168             // 000000008430: DBC61C00 CC00000D
	ds_read_b64_tr_b16 a[206:207], v13 offset:7424             // 000000008438: DBC61D00 CE00000D
	v_mov_b32_e32 v30, v16                                     // 000000008440: 7E3C0310
	v_mov_b32_e32 v31, v16                                     // 000000008444: 7E3E0310
	v_pk_mul_f32 v[80:81], v[30:31], v[80:81]                  // 000000008448: D3B14050 1802A11E
	v_pk_mul_f32 v[82:83], v[30:31], v[82:83]                  // 000000008450: D3B14052 1802A51E
	v_pk_mul_f32 v[84:85], v[30:31], v[84:85]                  // 000000008458: D3B14054 1802A91E
	v_pk_mul_f32 v[86:87], v[30:31], v[86:87]                  // 000000008460: D3B14056 1802AD1E
	v_pk_mul_f32 v[88:89], v[30:31], v[88:89]                  // 000000008468: D3B14058 1802B11E
	v_pk_mul_f32 v[90:91], v[30:31], v[90:91]                  // 000000008470: D3B1405A 1802B51E
	v_pk_mul_f32 v[92:93], v[30:31], v[92:93]                  // 000000008478: D3B1405C 1802B91E
	v_pk_mul_f32 v[94:95], v[30:31], v[94:95]                  // 000000008480: D3B1405E 1802BD1E
	v_pk_mul_f32 v[96:97], v[30:31], v[96:97]                  // 000000008488: D3B14060 1802C11E
	v_pk_mul_f32 v[98:99], v[30:31], v[98:99]                  // 000000008490: D3B14062 1802C51E
	v_pk_mul_f32 v[100:101], v[30:31], v[100:101]              // 000000008498: D3B14064 1802C91E
	v_pk_mul_f32 v[102:103], v[30:31], v[102:103]              // 0000000084A0: D3B14066 1802CD1E
	v_pk_mul_f32 v[104:105], v[30:31], v[104:105]              // 0000000084A8: D3B14068 1802D11E
	v_pk_mul_f32 v[106:107], v[30:31], v[106:107]              // 0000000084B0: D3B1406A 1802D51E
	v_pk_mul_f32 v[108:109], v[30:31], v[108:109]              // 0000000084B8: D3B1406C 1802D91E
	v_pk_mul_f32 v[110:111], v[30:31], v[110:111]              // 0000000084C0: D3B1406E 1802DD1E
	v_pk_mul_f32 v[112:113], v[30:31], v[112:113]              // 0000000084C8: D3B14070 1802E11E
	v_pk_mul_f32 v[114:115], v[30:31], v[114:115]              // 0000000084D0: D3B14072 1802E51E
	v_pk_mul_f32 v[116:117], v[30:31], v[116:117]              // 0000000084D8: D3B14074 1802E91E
	v_pk_mul_f32 v[118:119], v[30:31], v[118:119]              // 0000000084E0: D3B14076 1802ED1E
	v_pk_mul_f32 v[120:121], v[30:31], v[120:121]              // 0000000084E8: D3B14078 1802F11E
	v_pk_mul_f32 v[122:123], v[30:31], v[122:123]              // 0000000084F0: D3B1407A 1802F51E
	v_pk_mul_f32 v[124:125], v[30:31], v[124:125]              // 0000000084F8: D3B1407C 1802F91E
	v_pk_mul_f32 v[126:127], v[30:31], v[126:127]              // 000000008500: D3B1407E 1802FD1E
	v_pk_mul_f32 v[128:129], v[30:31], v[128:129]              // 000000008508: D3B14080 1803011E
	v_pk_mul_f32 v[130:131], v[30:31], v[130:131]              // 000000008510: D3B14082 1803051E
	v_pk_mul_f32 v[132:133], v[30:31], v[132:133]              // 000000008518: D3B14084 1803091E
	v_pk_mul_f32 v[134:135], v[30:31], v[134:135]              // 000000008520: D3B14086 18030D1E
	v_pk_mul_f32 v[136:137], v[30:31], v[136:137]              // 000000008528: D3B14088 1803111E
	v_pk_mul_f32 v[138:139], v[30:31], v[138:139]              // 000000008530: D3B1408A 1803151E
	v_pk_mul_f32 v[140:141], v[30:31], v[140:141]              // 000000008538: D3B1408C 1803191E
	v_pk_mul_f32 v[142:143], v[30:31], v[142:143]              // 000000008540: D3B1408E 18031D1E
	v_pk_mul_f32 v[144:145], v[30:31], v[144:145]              // 000000008548: D3B14090 1803211E
	v_pk_mul_f32 v[146:147], v[30:31], v[146:147]              // 000000008550: D3B14092 1803251E
	v_pk_mul_f32 v[148:149], v[30:31], v[148:149]              // 000000008558: D3B14094 1803291E
	v_pk_mul_f32 v[150:151], v[30:31], v[150:151]              // 000000008560: D3B14096 18032D1E
	v_pk_mul_f32 v[152:153], v[30:31], v[152:153]              // 000000008568: D3B14098 1803311E
	v_pk_mul_f32 v[154:155], v[30:31], v[154:155]              // 000000008570: D3B1409A 1803351E
	v_pk_mul_f32 v[156:157], v[30:31], v[156:157]              // 000000008578: D3B1409C 1803391E
	v_pk_mul_f32 v[158:159], v[30:31], v[158:159]              // 000000008580: D3B1409E 18033D1E
	v_pk_mul_f32 v[160:161], v[30:31], v[160:161]              // 000000008588: D3B140A0 1803411E
	v_pk_mul_f32 v[162:163], v[30:31], v[162:163]              // 000000008590: D3B140A2 1803451E
	v_pk_mul_f32 v[164:165], v[30:31], v[164:165]              // 000000008598: D3B140A4 1803491E
	v_pk_mul_f32 v[166:167], v[30:31], v[166:167]              // 0000000085A0: D3B140A6 18034D1E
	v_pk_mul_f32 v[168:169], v[30:31], v[168:169]              // 0000000085A8: D3B140A8 1803511E
	v_pk_mul_f32 v[170:171], v[30:31], v[170:171]              // 0000000085B0: D3B140AA 1803551E
	v_pk_mul_f32 v[172:173], v[30:31], v[172:173]              // 0000000085B8: D3B140AC 1803591E
	v_pk_mul_f32 v[174:175], v[30:31], v[174:175]              // 0000000085C0: D3B140AE 18035D1E
	v_pk_mul_f32 v[176:177], v[30:31], v[176:177]              // 0000000085C8: D3B140B0 1803611E
	v_mfma_f32_16x16x32_bf16 v[46:49], a[140:143], a[68:71], v[46:49]// 0000000085D0: D3B5002E 1CBA898C
	s_addk_i32 s70, 0x1                                        // 0000000085D8: B7460001
	s_cmp_lt_i32 s70, s71                                      // 0000000085DC: BF044746
	s_cbranch_scc0 label_3B18                                  // 0000000085E0: BF84F68D
	s_branch label_3B24                                        // 0000000085E4: BF82F68F

00000000000085e8 <label_60E8>:
	ds_read_b64_tr_b16 a[144:145], v12                         // 0000000085E8: DBC60000 9000000C
	ds_read_b64_tr_b16 a[146:147], v12 offset:256              // 0000000085F0: DBC60100 9200000C
	ds_read_b64_tr_b16 a[148:149], v13                         // 0000000085F8: DBC60000 9400000D
	ds_read_b64_tr_b16 a[150:151], v13 offset:256              // 000000008600: DBC60100 9600000D
	ds_read_b64_tr_b16 a[152:153], v12 offset:1024             // 000000008608: DBC60400 9800000C
	ds_read_b64_tr_b16 a[154:155], v12 offset:1280             // 000000008610: DBC60500 9A00000C
	ds_read_b64_tr_b16 a[156:157], v13 offset:1024             // 000000008618: DBC60400 9C00000D
	ds_read_b64_tr_b16 a[158:159], v13 offset:1280             // 000000008620: DBC60500 9E00000D
	ds_read_b64_tr_b16 a[160:161], v12 offset:2048             // 000000008628: DBC60800 A000000C
	ds_read_b64_tr_b16 a[162:163], v12 offset:2304             // 000000008630: DBC60900 A200000C
	ds_read_b64_tr_b16 a[164:165], v13 offset:2048             // 000000008638: DBC60800 A400000D
	ds_read_b64_tr_b16 a[166:167], v13 offset:2304             // 000000008640: DBC60900 A600000D
	ds_read_b64_tr_b16 a[168:169], v12 offset:3072             // 000000008648: DBC60C00 A800000C
	ds_read_b64_tr_b16 a[170:171], v12 offset:3328             // 000000008650: DBC60D00 AA00000C
	ds_read_b64_tr_b16 a[172:173], v13 offset:3072             // 000000008658: DBC60C00 AC00000D
	ds_read_b64_tr_b16 a[174:175], v13 offset:3328             // 000000008660: DBC60D00 AE00000D
	s_waitcnt lgkmcnt(0)                                       // 000000008668: BF8CC07F
	v_mfma_f32_16x16x32_bf16 v[50:53], a[144:147], v[34:37], v[50:53]// 00000000866C: D3B50032 0CCA4590
	ds_read_b64_tr_b16 a[176:177], v12 offset:4096             // 000000008674: DBC61000 B000000C
	ds_read_b64_tr_b16 a[178:179], v12 offset:4352             // 00000000867C: DBC61100 B200000C
	ds_read_b64_tr_b16 a[180:181], v13 offset:4096             // 000000008684: DBC61000 B400000D
	ds_read_b64_tr_b16 a[182:183], v13 offset:4352             // 00000000868C: DBC61100 B600000D
	v_mfma_f32_16x16x32_bf16 v[54:57], a[148:151], v[34:37], v[54:57]// 000000008694: D3B50036 0CDA4594
	v_mfma_f32_16x16x32_bf16 v[58:61], a[152:155], v[34:37], v[58:61]// 00000000869C: D3B5003A 0CEA4598
	ds_read_b64_tr_b16 a[184:185], v12 offset:5120             // 0000000086A4: DBC61400 B800000C
	ds_read_b64_tr_b16 a[186:187], v12 offset:5376             // 0000000086AC: DBC61500 BA00000C
	ds_read_b64_tr_b16 a[188:189], v13 offset:5120             // 0000000086B4: DBC61400 BC00000D
	ds_read_b64_tr_b16 a[190:191], v13 offset:5376             // 0000000086BC: DBC61500 BE00000D
	v_mfma_f32_16x16x32_bf16 v[62:65], a[156:159], v[34:37], v[62:65]// 0000000086C4: D3B5003E 0CFA459C
	v_mfma_f32_16x16x32_bf16 v[66:69], a[160:163], v[34:37], v[66:69]// 0000000086CC: D3B50042 0D0A45A0
	ds_read_b64_tr_b16 a[192:193], v12 offset:6144             // 0000000086D4: DBC61800 C000000C
	ds_read_b64_tr_b16 a[194:195], v12 offset:6400             // 0000000086DC: DBC61900 C200000C
	ds_read_b64_tr_b16 a[196:197], v13 offset:6144             // 0000000086E4: DBC61800 C400000D
	ds_read_b64_tr_b16 a[198:199], v13 offset:6400             // 0000000086EC: DBC61900 C600000D
	v_mfma_f32_16x16x32_bf16 v[70:73], a[164:167], v[34:37], v[70:73]// 0000000086F4: D3B50046 0D1A45A4
	v_mfma_f32_16x16x32_bf16 v[74:77], a[168:171], v[34:37], v[74:77]// 0000000086FC: D3B5004A 0D2A45A8
	ds_read_b64_tr_b16 a[200:201], v12 offset:7168             // 000000008704: DBC61C00 C800000C
	ds_read_b64_tr_b16 a[202:203], v12 offset:7424             // 00000000870C: DBC61D00 CA00000C
	ds_read_b64_tr_b16 a[204:205], v13 offset:7168             // 000000008714: DBC61C00 CC00000D
	ds_read_b64_tr_b16 a[206:207], v13 offset:7424             // 00000000871C: DBC61D00 CE00000D
	v_mfma_f32_16x16x32_bf16 v[78:81], a[172:175], v[34:37], v[78:81]// 000000008724: D3B5004E 0D3A45AC
	v_mfma_f32_16x16x32_bf16 v[82:85], a[176:179], v[34:37], v[82:85]// 00000000872C: D3B50052 0D4A45B0
	ds_read_b64_tr_b16 a[144:145], v12 offset:8192             // 000000008734: DBC62000 9000000C
	ds_read_b64_tr_b16 a[146:147], v12 offset:8448             // 00000000873C: DBC62100 9200000C
	ds_read_b64_tr_b16 a[148:149], v13 offset:8192             // 000000008744: DBC62000 9400000D
	ds_read_b64_tr_b16 a[150:151], v13 offset:8448             // 00000000874C: DBC62100 9600000D
	v_mfma_f32_16x16x32_bf16 v[86:89], a[180:183], v[34:37], v[86:89]// 000000008754: D3B50056 0D5A45B4
	v_mfma_f32_16x16x32_bf16 v[90:93], a[184:187], v[34:37], v[90:93]// 00000000875C: D3B5005A 0D6A45B8
	ds_read_b64_tr_b16 a[152:153], v12 offset:9216             // 000000008764: DBC62400 9800000C
	ds_read_b64_tr_b16 a[154:155], v12 offset:9472             // 00000000876C: DBC62500 9A00000C
	ds_read_b64_tr_b16 a[156:157], v13 offset:9216             // 000000008774: DBC62400 9C00000D
	ds_read_b64_tr_b16 a[158:159], v13 offset:9472             // 00000000877C: DBC62500 9E00000D
	v_mfma_f32_16x16x32_bf16 v[94:97], a[188:191], v[34:37], v[94:97]// 000000008784: D3B5005E 0D7A45BC
	v_mfma_f32_16x16x32_bf16 v[98:101], a[192:195], v[34:37], v[98:101]// 00000000878C: D3B50062 0D8A45C0
	ds_read_b64_tr_b16 a[160:161], v12 offset:10240            // 000000008794: DBC62800 A000000C
	ds_read_b64_tr_b16 a[162:163], v12 offset:10496            // 00000000879C: DBC62900 A200000C
	ds_read_b64_tr_b16 a[164:165], v13 offset:10240            // 0000000087A4: DBC62800 A400000D
	ds_read_b64_tr_b16 a[166:167], v13 offset:10496            // 0000000087AC: DBC62900 A600000D
	v_mfma_f32_16x16x32_bf16 v[102:105], a[196:199], v[34:37], v[102:105]// 0000000087B4: D3B50066 0D9A45C4
	v_mfma_f32_16x16x32_bf16 v[106:109], a[200:203], v[34:37], v[106:109]// 0000000087BC: D3B5006A 0DAA45C8
	ds_read_b64_tr_b16 a[168:169], v12 offset:11264            // 0000000087C4: DBC62C00 A800000C
	ds_read_b64_tr_b16 a[170:171], v12 offset:11520            // 0000000087CC: DBC62D00 AA00000C
	ds_read_b64_tr_b16 a[172:173], v13 offset:11264            // 0000000087D4: DBC62C00 AC00000D
	ds_read_b64_tr_b16 a[174:175], v13 offset:11520            // 0000000087DC: DBC62D00 AE00000D
	v_mfma_f32_16x16x32_bf16 v[110:113], a[204:207], v[34:37], v[110:113]// 0000000087E4: D3B5006E 0DBA45CC
	v_mfma_f32_16x16x32_bf16 v[114:117], a[144:147], v[34:37], v[114:117]// 0000000087EC: D3B50072 0DCA4590
	ds_read_b64_tr_b16 a[176:177], v12 offset:12288            // 0000000087F4: DBC63000 B000000C
	ds_read_b64_tr_b16 a[178:179], v12 offset:12544            // 0000000087FC: DBC63100 B200000C
	ds_read_b64_tr_b16 a[180:181], v13 offset:12288            // 000000008804: DBC63000 B400000D
	ds_read_b64_tr_b16 a[182:183], v13 offset:12544            // 00000000880C: DBC63100 B600000D
	v_mfma_f32_16x16x32_bf16 v[118:121], a[148:151], v[34:37], v[118:121]// 000000008814: D3B50076 0DDA4594
	ds_read_b64_tr_b16 a[184:185], v12 offset:13312            // 00000000881C: DBC63400 B800000C
	ds_read_b64_tr_b16 a[186:187], v12 offset:13568            // 000000008824: DBC63500 BA00000C
	ds_read_b64_tr_b16 a[188:189], v13 offset:13312            // 00000000882C: DBC63400 BC00000D
	ds_read_b64_tr_b16 a[190:191], v13 offset:13568            // 000000008834: DBC63500 BE00000D
	v_mfma_f32_16x16x32_bf16 v[122:125], a[152:155], v[34:37], v[122:125]// 00000000883C: D3B5007A 0DEA4598
	ds_read_b64_tr_b16 a[192:193], v12 offset:14336            // 000000008844: DBC63800 C000000C
	ds_read_b64_tr_b16 a[194:195], v12 offset:14592            // 00000000884C: DBC63900 C200000C
	ds_read_b64_tr_b16 a[196:197], v13 offset:14336            // 000000008854: DBC63800 C400000D
	ds_read_b64_tr_b16 a[198:199], v13 offset:14592            // 00000000885C: DBC63900 C600000D
	v_mfma_f32_16x16x32_bf16 v[126:129], a[156:159], v[34:37], v[126:129]// 000000008864: D3B5007E 0DFA459C
	ds_read_b64_tr_b16 a[200:201], v12 offset:15360            // 00000000886C: DBC63C00 C800000C
	ds_read_b64_tr_b16 a[202:203], v12 offset:15616            // 000000008874: DBC63D00 CA00000C
	ds_read_b64_tr_b16 a[204:205], v13 offset:15360            // 00000000887C: DBC63C00 CC00000D
	ds_read_b64_tr_b16 a[206:207], v13 offset:15616            // 000000008884: DBC63D00 CE00000D
	v_mfma_f32_16x16x32_bf16 v[130:133], a[160:163], v[34:37], v[130:133]// 00000000888C: D3B50082 0E0A45A0
	v_mfma_f32_16x16x32_bf16 v[134:137], a[164:167], v[34:37], v[134:137]// 000000008894: D3B50086 0E1A45A4
	v_mfma_f32_16x16x32_bf16 v[138:141], a[168:171], v[34:37], v[138:141]// 00000000889C: D3B5008A 0E2A45A8
	v_mfma_f32_16x16x32_bf16 v[142:145], a[172:175], v[34:37], v[142:145]// 0000000088A4: D3B5008E 0E3A45AC
	v_mfma_f32_16x16x32_bf16 v[146:149], a[176:179], v[34:37], v[146:149]// 0000000088AC: D3B50092 0E4A45B0
	v_mfma_f32_16x16x32_bf16 v[150:153], a[180:183], v[34:37], v[150:153]// 0000000088B4: D3B50096 0E5A45B4
	v_mfma_f32_16x16x32_bf16 v[154:157], a[184:187], v[34:37], v[154:157]// 0000000088BC: D3B5009A 0E6A45B8
	v_mfma_f32_16x16x32_bf16 v[158:161], a[188:191], v[34:37], v[158:161]// 0000000088C4: D3B5009E 0E7A45BC
	v_mfma_f32_16x16x32_bf16 v[162:165], a[192:195], v[34:37], v[162:165]// 0000000088CC: D3B500A2 0E8A45C0
	v_mfma_f32_16x16x32_bf16 v[166:169], a[196:199], v[34:37], v[166:169]// 0000000088D4: D3B500A6 0E9A45C4
	v_mfma_f32_16x16x32_bf16 v[170:173], a[200:203], v[34:37], v[170:173]// 0000000088DC: D3B500AA 0EAA45C8
	v_mfma_f32_16x16x32_bf16 v[174:177], a[204:207], v[34:37], v[174:177]// 0000000088E4: D3B500AE 0EBA45CC
	s_branch label_8C54                                        // 0000000088EC: BF820A19

00000000000088f0 <label_63F0>:
	s_and_b32 s56, 3, s71                                      // 0000000088F0: 86384783
	s_cmp_eq_i32 s56, 0                                        // 0000000088F4: BF008038
	s_cbranch_scc1 label_7834                                  // 0000000088F8: BF85050E
	s_cmp_eq_i32 s56, 1                                        // 0000000088FC: BF008138
	s_cbranch_scc1 label_8244                                  // 000000008900: BF850790
	s_cmp_eq_i32 s56, 3                                        // 000000008904: BF008338
	s_cbranch_scc1 label_6E24                                  // 000000008908: BF850286
	s_cmp_eq_i32 s56, 2                                        // 00000000890C: BF008238
	s_cbranch_scc1 label_6414                                  // 000000008910: BF850000

0000000000008914 <label_6414>:
	s_sub_u32 s56, s71, 2                                      // 000000008914: 80B88247
	s_mul_i32 s56, s84, s56                                    // 000000008918: 92383854
	s_add_u32 s83, s56, s83                                    // 00000000891C: 80535338
	s_cmp_le_i32 s83, s82                                      // 000000008920: BF055253
	s_cbranch_scc1 label_6520                                  // 000000008924: BF85003E
	v_mov_b32_e32 v28, s82                                     // 000000008928: 7E380252
	s_lshl_b32 s56, s2, 1                                      // 00000000892C: 8E388102
	s_lshr_b32 s57, s7, 1                                      // 000000008930: 8F398107
	s_add_u32 s56, s56, s57                                    // 000000008934: 80383938
	v_add_u32_e32 v28, s56, v28                                // 000000008938: 68383838
	s_sub_u32 s56, s83, 31                                     // 00000000893C: 80B89F53
	v_lshrrev_b32_e32 v18, 4, v0                               // 000000008940: 20240084
	v_mul_i32_i24_e32 v18, 4, v18                              // 000000008944: 0C242484
	v_add_u32_e32 v18, s56, v18                                // 000000008948: 68242438
	v_add_u32_e32 v19, 1, v18                                  // 00000000894C: 68262481
	v_add_u32_e32 v20, 2, v18                                  // 000000008950: 68282482
	v_add_u32_e32 v21, 3, v18                                  // 000000008954: 682A2483
	v_mov_b32_e32 v29, 0xff800000                              // 000000008958: 7E3A02FF FF800000
	v_cmp_le_u32_e64 s[36:37], v18, v28                        // 000000008960: D0CB0024 00023912
	v_add_u32_e32 v18, 16, v18                                 // 000000008968: 68242490
	s_nop 0                                                    // 00000000896C: BF800000
	v_cndmask_b32_e64 v42, v29, v42, s[36:37]                  // 000000008970: D100002A 0092551D
	v_cmp_le_u32_e64 s[36:37], v19, v28                        // 000000008978: D0CB0024 00023913
	v_add_u32_e32 v19, 16, v19                                 // 000000008980: 68262690
	s_nop 0                                                    // 000000008984: BF800000
	v_cndmask_b32_e64 v43, v29, v43, s[36:37]                  // 000000008988: D100002B 0092571D
	v_cmp_le_u32_e64 s[36:37], v20, v28                        // 000000008990: D0CB0024 00023914
	v_add_u32_e32 v20, 16, v20                                 // 000000008998: 68282890
	s_nop 0                                                    // 00000000899C: BF800000
	v_cndmask_b32_e64 v44, v29, v44, s[36:37]                  // 0000000089A0: D100002C 0092591D
	v_cmp_le_u32_e64 s[36:37], v21, v28                        // 0000000089A8: D0CB0024 00023915
	v_add_u32_e32 v21, 16, v21                                 // 0000000089B0: 682A2A90
	s_nop 0                                                    // 0000000089B4: BF800000
	v_cndmask_b32_e64 v45, v29, v45, s[36:37]                  // 0000000089B8: D100002D 00925B1D
	v_cmp_le_u32_e64 s[36:37], v18, v28                        // 0000000089C0: D0CB0024 00023912
	v_add_u32_e32 v18, 16, v18                                 // 0000000089C8: 68242490
	s_nop 0                                                    // 0000000089CC: BF800000
	v_cndmask_b32_e64 v46, v29, v46, s[36:37]                  // 0000000089D0: D100002E 00925D1D
	v_cmp_le_u32_e64 s[36:37], v19, v28                        // 0000000089D8: D0CB0024 00023913
	v_add_u32_e32 v19, 16, v19                                 // 0000000089E0: 68262690
	s_nop 0                                                    // 0000000089E4: BF800000
	v_cndmask_b32_e64 v47, v29, v47, s[36:37]                  // 0000000089E8: D100002F 00925F1D
	v_cmp_le_u32_e64 s[36:37], v20, v28                        // 0000000089F0: D0CB0024 00023914
	v_add_u32_e32 v20, 16, v20                                 // 0000000089F8: 68282890
	s_nop 0                                                    // 0000000089FC: BF800000
	v_cndmask_b32_e64 v48, v29, v48, s[36:37]                  // 000000008A00: D1000030 0092611D
	v_cmp_le_u32_e64 s[36:37], v21, v28                        // 000000008A08: D0CB0024 00023915
	v_add_u32_e32 v21, 16, v21                                 // 000000008A10: 682A2A90
	s_nop 0                                                    // 000000008A14: BF800000
	v_cndmask_b32_e64 v49, v29, v49, s[36:37]                  // 000000008A18: D1000031 0092631D

0000000000008a20 <label_6520>:
	s_add_u32 s83, s84, s83                                    // 000000008A20: 80535354
	s_nop 2                                                    // 000000008A24: BF800002
	v_mov_b32_e32 v29, v42                                     // 000000008A28: 7E3A032A
	v_max3_f32 v29, v42, v43, v29                              // 000000008A2C: D1D3001D 0476572A
	v_max3_f32 v29, v44, v45, v29                              // 000000008A34: D1D3001D 04765B2C
	v_max3_f32 v29, v46, v47, v29                              // 000000008A3C: D1D3001D 04765F2E
	v_max3_f32 v29, v48, v49, v29                              // 000000008A44: D1D3001D 04766330
	v_mov_b32_e32 v28, v29                                     // 000000008A4C: 7E38031D
	v_mov_b32_e32 v29, v29                                     // 000000008A50: 7E3A031D
	s_nop 1                                                    // 000000008A54: BF800001
	v_permlane16_swap_b32_e32 v28, v29                         // 000000008A58: 7E38B31D
	v_mov_b32_e32 v31, v28                                     // 000000008A5C: 7E3E031C
	v_mov_b32_e32 v30, v29                                     // 000000008A60: 7E3C031D
	s_nop 1                                                    // 000000008A64: BF800001
	v_permlane32_swap_b32_e32 v28, v29                         // 000000008A68: 7E38B51D
	v_permlane32_swap_b32_e32 v30, v31                         // 000000008A6C: 7E3CB51F
	v_max3_f32 v29, v28, v29, v29                              // 000000008A70: D1D3001D 04763B1C
	v_max3_f32 v29, v30, v31, v29                              // 000000008A78: D1D3001D 04763F1E
	v_mov_b32_e32 v28, 0xff800000                              // 000000008A80: 7E3802FF FF800000
	v_cmp_eq_u32_e64 s[36:37], v28, v2                         // 000000008A88: D0CA0024 0002051C
	v_max_f32_e32 v29, v29, v2                                 // 000000008A90: 163A051D
	v_sub_f32_e32 v16, v2, v29                                 // 000000008A94: 04203B02
	v_cndmask_b32_e64 v16, v16, 0, s[36:37]                    // 000000008A98: D1000010 00910110
	v_mov_b32_e32 v2, v29                                      // 000000008AA0: 7E04031D
	v_mul_f32_e32 v29, s5, v29                                 // 000000008AA4: 0A3A3A05
	v_mul_f32_e32 v16, s5, v16                                 // 000000008AA8: 0A202005
	v_exp_f32_e32 v16, v16                                     // 000000008AAC: 7E204110
	v_fma_f32 v42, v42, s5, -v29                               // 000000008AB0: D1CB002A 84740B2A
	v_fma_f32 v43, v43, s5, -v29                               // 000000008AB8: D1CB002B 84740B2B
	v_fma_f32 v44, v44, s5, -v29                               // 000000008AC0: D1CB002C 84740B2C
	v_fma_f32 v45, v45, s5, -v29                               // 000000008AC8: D1CB002D 84740B2D
	v_fma_f32 v46, v46, s5, -v29                               // 000000008AD0: D1CB002E 84740B2E
	v_fma_f32 v47, v47, s5, -v29                               // 000000008AD8: D1CB002F 84740B2F
	v_fma_f32 v48, v48, s5, -v29                               // 000000008AE0: D1CB0030 84740B30
	v_fma_f32 v49, v49, s5, -v29                               // 000000008AE8: D1CB0031 84740B31
	v_exp_f32_e32 v42, v42                                     // 000000008AF0: 7E54412A
	v_exp_f32_e32 v43, v43                                     // 000000008AF4: 7E56412B
	v_exp_f32_e32 v44, v44                                     // 000000008AF8: 7E58412C
	v_exp_f32_e32 v45, v45                                     // 000000008AFC: 7E5A412D
	v_exp_f32_e32 v46, v46                                     // 000000008B00: 7E5C412E
	v_exp_f32_e32 v47, v47                                     // 000000008B04: 7E5E412F
	v_exp_f32_e32 v48, v48                                     // 000000008B08: 7E604130
	v_exp_f32_e32 v49, v49                                     // 000000008B0C: 7E624131
	v_mul_f32_e32 v4, v16, v4                                  // 000000008B10: 0A080910
	v_mov_b32_e32 v28, v42                                     // 000000008B14: 7E38032A
	v_add_f32_e32 v28, v43, v28                                // 000000008B18: 0238392B
	v_add_f32_e32 v28, v44, v28                                // 000000008B1C: 0238392C
	v_add_f32_e32 v28, v45, v28                                // 000000008B20: 0238392D
	v_add_f32_e32 v28, v46, v28                                // 000000008B24: 0238392E
	v_add_f32_e32 v28, v47, v28                                // 000000008B28: 0238392F
	v_add_f32_e32 v28, v48, v28                                // 000000008B2C: 02383930
	v_add_f32_e32 v28, v49, v28                                // 000000008B30: 02383931
	v_add_f32_e32 v4, v28, v4                                  // 000000008B34: 0208091C
	v_cvt_pk_bf16_f32 v42, v42, v43                            // 000000008B38: D268002A 0002572A
	v_cvt_pk_bf16_f32 v43, v44, v45                            // 000000008B40: D268002B 00025B2C
	v_cvt_pk_bf16_f32 v44, v46, v47                            // 000000008B48: D268002C 00025F2E
	v_cvt_pk_bf16_f32 v45, v48, v49                            // 000000008B50: D268002D 00026330
	s_nop 0                                                    // 000000008B58: BF800000
	v_permlane32_swap_b32_e32 v42, v44                         // 000000008B5C: 7E54B52C
	v_permlane32_swap_b32_e32 v43, v45                         // 000000008B60: 7E56B52D
	s_nop 0                                                    // 000000008B64: BF800000
	v_permlane16_swap_b32_e32 v42, v44                         // 000000008B68: 7E54B32C
	v_permlane16_swap_b32_e32 v43, v45                         // 000000008B6C: 7E56B32D
	s_waitcnt lgkmcnt(4)                                       // 000000008B70: BF8CC47F
	v_mfma_f32_16x16x32_bf16 v[50:53], a[144:147], v[34:37], v[50:53]// 000000008B74: D3B50032 0CCA4590
	v_mfma_f32_16x16x32_bf16 v[54:57], a[148:151], v[34:37], v[54:57]// 000000008B7C: D3B50036 0CDA4594
	v_mfma_f32_16x16x32_bf16 v[58:61], a[152:155], v[34:37], v[58:61]// 000000008B84: D3B5003A 0CEA4598
	v_mfma_f32_16x16x32_bf16 v[62:65], a[156:159], v[34:37], v[62:65]// 000000008B8C: D3B5003E 0CFA459C
	v_mfma_f32_16x16x32_bf16 v[66:69], a[160:163], v[34:37], v[66:69]// 000000008B94: D3B50042 0D0A45A0
	v_mfma_f32_16x16x32_bf16 v[70:73], a[164:167], v[34:37], v[70:73]// 000000008B9C: D3B50046 0D1A45A4
	v_mfma_f32_16x16x32_bf16 v[74:77], a[168:171], v[34:37], v[74:77]// 000000008BA4: D3B5004A 0D2A45A8
	v_mfma_f32_16x16x32_bf16 v[78:81], a[172:175], v[34:37], v[78:81]// 000000008BAC: D3B5004E 0D3A45AC
	v_mfma_f32_16x16x32_bf16 v[82:85], a[176:179], v[34:37], v[82:85]// 000000008BB4: D3B50052 0D4A45B0
	v_mfma_f32_16x16x32_bf16 v[86:89], a[180:183], v[34:37], v[86:89]// 000000008BBC: D3B50056 0D5A45B4
	v_mfma_f32_16x16x32_bf16 v[90:93], a[184:187], v[34:37], v[90:93]// 000000008BC4: D3B5005A 0D6A45B8
	v_mfma_f32_16x16x32_bf16 v[94:97], a[188:191], v[34:37], v[94:97]// 000000008BCC: D3B5005E 0D7A45BC
	v_mfma_f32_16x16x32_bf16 v[98:101], a[192:195], v[34:37], v[98:101]// 000000008BD4: D3B50062 0D8A45C0
	v_mfma_f32_16x16x32_bf16 v[102:105], a[196:199], v[34:37], v[102:105]// 000000008BDC: D3B50066 0D9A45C4
	v_mfma_f32_16x16x32_bf16 v[106:109], a[200:203], v[34:37], v[106:109]// 000000008BE4: D3B5006A 0DAA45C8
	v_mfma_f32_16x16x32_bf16 v[110:113], a[204:207], v[34:37], v[110:113]// 000000008BEC: D3B5006E 0DBA45CC
	ds_read_b64_tr_b16 a[144:145], v12 offset:8192             // 000000008BF4: DBC62000 9000000C
	ds_read_b64_tr_b16 a[146:147], v12 offset:8448             // 000000008BFC: DBC62100 9200000C
	ds_read_b64_tr_b16 a[148:149], v13 offset:8192             // 000000008C04: DBC62000 9400000D
	ds_read_b64_tr_b16 a[150:151], v13 offset:8448             // 000000008C0C: DBC62100 9600000D
	ds_read_b64_tr_b16 a[152:153], v12 offset:9216             // 000000008C14: DBC62400 9800000C
	ds_read_b64_tr_b16 a[154:155], v12 offset:9472             // 000000008C1C: DBC62500 9A00000C
	ds_read_b64_tr_b16 a[156:157], v13 offset:9216             // 000000008C24: DBC62400 9C00000D
	ds_read_b64_tr_b16 a[158:159], v13 offset:9472             // 000000008C2C: DBC62500 9E00000D
	ds_read_b64_tr_b16 a[160:161], v12 offset:10240            // 000000008C34: DBC62800 A000000C
	ds_read_b64_tr_b16 a[162:163], v12 offset:10496            // 000000008C3C: DBC62900 A200000C
	ds_read_b64_tr_b16 a[164:165], v13 offset:10240            // 000000008C44: DBC62800 A400000D
	ds_read_b64_tr_b16 a[166:167], v13 offset:10496            // 000000008C4C: DBC62900 A600000D
	ds_read_b64_tr_b16 a[168:169], v12 offset:11264            // 000000008C54: DBC62C00 A800000C
	ds_read_b64_tr_b16 a[170:171], v12 offset:11520            // 000000008C5C: DBC62D00 AA00000C
	ds_read_b64_tr_b16 a[172:173], v13 offset:11264            // 000000008C64: DBC62C00 AC00000D
	ds_read_b64_tr_b16 a[174:175], v13 offset:11520            // 000000008C6C: DBC62D00 AE00000D
	ds_read_b64_tr_b16 a[176:177], v12 offset:12288            // 000000008C74: DBC63000 B000000C
	ds_read_b64_tr_b16 a[178:179], v12 offset:12544            // 000000008C7C: DBC63100 B200000C
	ds_read_b64_tr_b16 a[180:181], v13 offset:12288            // 000000008C84: DBC63000 B400000D
	ds_read_b64_tr_b16 a[182:183], v13 offset:12544            // 000000008C8C: DBC63100 B600000D
	ds_read_b64_tr_b16 a[184:185], v12 offset:13312            // 000000008C94: DBC63400 B800000C
	ds_read_b64_tr_b16 a[186:187], v12 offset:13568            // 000000008C9C: DBC63500 BA00000C
	ds_read_b64_tr_b16 a[188:189], v13 offset:13312            // 000000008CA4: DBC63400 BC00000D
	ds_read_b64_tr_b16 a[190:191], v13 offset:13568            // 000000008CAC: DBC63500 BE00000D
	ds_read_b64_tr_b16 a[192:193], v12 offset:14336            // 000000008CB4: DBC63800 C000000C
	ds_read_b64_tr_b16 a[194:195], v12 offset:14592            // 000000008CBC: DBC63900 C200000C
	ds_read_b64_tr_b16 a[196:197], v13 offset:14336            // 000000008CC4: DBC63800 C400000D
	ds_read_b64_tr_b16 a[198:199], v13 offset:14592            // 000000008CCC: DBC63900 C600000D
	ds_read_b64_tr_b16 a[200:201], v12 offset:15360            // 000000008CD4: DBC63C00 C800000C
	ds_read_b64_tr_b16 a[202:203], v12 offset:15616            // 000000008CDC: DBC63D00 CA00000C
	ds_read_b64_tr_b16 a[204:205], v13 offset:15360            // 000000008CE4: DBC63C00 CC00000D
	ds_read_b64_tr_b16 a[206:207], v13 offset:15616            // 000000008CEC: DBC63D00 CE00000D
	s_waitcnt lgkmcnt(0)                                       // 000000008CF4: BF8CC07F
	v_mfma_f32_16x16x32_bf16 v[114:117], a[144:147], v[34:37], v[114:117]// 000000008CF8: D3B50072 0DCA4590
	v_mfma_f32_16x16x32_bf16 v[118:121], a[148:151], v[34:37], v[118:121]// 000000008D00: D3B50076 0DDA4594
	v_mfma_f32_16x16x32_bf16 v[122:125], a[152:155], v[34:37], v[122:125]// 000000008D08: D3B5007A 0DEA4598
	v_mfma_f32_16x16x32_bf16 v[126:129], a[156:159], v[34:37], v[126:129]// 000000008D10: D3B5007E 0DFA459C
	v_mfma_f32_16x16x32_bf16 v[130:133], a[160:163], v[34:37], v[130:133]// 000000008D18: D3B50082 0E0A45A0
	v_mfma_f32_16x16x32_bf16 v[134:137], a[164:167], v[34:37], v[134:137]// 000000008D20: D3B50086 0E1A45A4
	v_mfma_f32_16x16x32_bf16 v[138:141], a[168:171], v[34:37], v[138:141]// 000000008D28: D3B5008A 0E2A45A8
	v_mfma_f32_16x16x32_bf16 v[142:145], a[172:175], v[34:37], v[142:145]// 000000008D30: D3B5008E 0E3A45AC
	v_mfma_f32_16x16x32_bf16 v[146:149], a[176:179], v[34:37], v[146:149]// 000000008D38: D3B50092 0E4A45B0
	v_mfma_f32_16x16x32_bf16 v[150:153], a[180:183], v[34:37], v[150:153]// 000000008D40: D3B50096 0E5A45B4
	v_mfma_f32_16x16x32_bf16 v[154:157], a[184:187], v[34:37], v[154:157]// 000000008D48: D3B5009A 0E6A45B8
	v_mfma_f32_16x16x32_bf16 v[158:161], a[188:191], v[34:37], v[158:161]// 000000008D50: D3B5009E 0E7A45BC
	v_mfma_f32_16x16x32_bf16 v[162:165], a[192:195], v[34:37], v[162:165]// 000000008D58: D3B500A2 0E8A45C0
	v_mfma_f32_16x16x32_bf16 v[166:169], a[196:199], v[34:37], v[166:169]// 000000008D60: D3B500A6 0E9A45C4
	v_mfma_f32_16x16x32_bf16 v[170:173], a[200:203], v[34:37], v[170:173]// 000000008D68: D3B500AA 0EAA45C8
	v_mfma_f32_16x16x32_bf16 v[174:177], a[204:207], v[34:37], v[174:177]// 000000008D70: D3B500AE 0EBA45CC
	ds_read_b64_tr_b16 a[144:145], v14                         // 000000008D78: DBC60000 9000000E
	ds_read_b64_tr_b16 a[146:147], v14 offset:256              // 000000008D80: DBC60100 9200000E
	ds_read_b64_tr_b16 a[148:149], v15                         // 000000008D88: DBC60000 9400000F
	ds_read_b64_tr_b16 a[150:151], v15 offset:256              // 000000008D90: DBC60100 9600000F
	ds_read_b64_tr_b16 a[152:153], v14 offset:1024             // 000000008D98: DBC60400 9800000E
	ds_read_b64_tr_b16 a[154:155], v14 offset:1280             // 000000008DA0: DBC60500 9A00000E
	ds_read_b64_tr_b16 a[156:157], v15 offset:1024             // 000000008DA8: DBC60400 9C00000F
	ds_read_b64_tr_b16 a[158:159], v15 offset:1280             // 000000008DB0: DBC60500 9E00000F
	ds_read_b64_tr_b16 a[160:161], v14 offset:2048             // 000000008DB8: DBC60800 A000000E
	ds_read_b64_tr_b16 a[162:163], v14 offset:2304             // 000000008DC0: DBC60900 A200000E
	ds_read_b64_tr_b16 a[164:165], v15 offset:2048             // 000000008DC8: DBC60800 A400000F
	ds_read_b64_tr_b16 a[166:167], v15 offset:2304             // 000000008DD0: DBC60900 A600000F
	ds_read_b64_tr_b16 a[168:169], v14 offset:3072             // 000000008DD8: DBC60C00 A800000E
	ds_read_b64_tr_b16 a[170:171], v14 offset:3328             // 000000008DE0: DBC60D00 AA00000E
	ds_read_b64_tr_b16 a[172:173], v15 offset:3072             // 000000008DE8: DBC60C00 AC00000F
	ds_read_b64_tr_b16 a[174:175], v15 offset:3328             // 000000008DF0: DBC60D00 AE00000F
	ds_read_b64_tr_b16 a[176:177], v14 offset:4096             // 000000008DF8: DBC61000 B000000E
	ds_read_b64_tr_b16 a[178:179], v14 offset:4352             // 000000008E00: DBC61100 B200000E
	ds_read_b64_tr_b16 a[180:181], v15 offset:4096             // 000000008E08: DBC61000 B400000F
	ds_read_b64_tr_b16 a[182:183], v15 offset:4352             // 000000008E10: DBC61100 B600000F
	ds_read_b64_tr_b16 a[184:185], v14 offset:5120             // 000000008E18: DBC61400 B800000E
	ds_read_b64_tr_b16 a[186:187], v14 offset:5376             // 000000008E20: DBC61500 BA00000E
	ds_read_b64_tr_b16 a[188:189], v15 offset:5120             // 000000008E28: DBC61400 BC00000F
	ds_read_b64_tr_b16 a[190:191], v15 offset:5376             // 000000008E30: DBC61500 BE00000F
	ds_read_b64_tr_b16 a[192:193], v14 offset:6144             // 000000008E38: DBC61800 C000000E
	ds_read_b64_tr_b16 a[194:195], v14 offset:6400             // 000000008E40: DBC61900 C200000E
	ds_read_b64_tr_b16 a[196:197], v15 offset:6144             // 000000008E48: DBC61800 C400000F
	ds_read_b64_tr_b16 a[198:199], v15 offset:6400             // 000000008E50: DBC61900 C600000F
	ds_read_b64_tr_b16 a[200:201], v14 offset:7168             // 000000008E58: DBC61C00 C800000E
	ds_read_b64_tr_b16 a[202:203], v14 offset:7424             // 000000008E60: DBC61D00 CA00000E
	ds_read_b64_tr_b16 a[204:205], v15 offset:7168             // 000000008E68: DBC61C00 CC00000F
	ds_read_b64_tr_b16 a[206:207], v15 offset:7424             // 000000008E70: DBC61D00 CE00000F
	v_mov_b32_e32 v30, v16                                     // 000000008E78: 7E3C0310
	v_mov_b32_e32 v31, v16                                     // 000000008E7C: 7E3E0310
	v_pk_mul_f32 v[50:51], v[30:31], v[50:51]                  // 000000008E80: D3B14032 1802651E
	v_pk_mul_f32 v[52:53], v[30:31], v[52:53]                  // 000000008E88: D3B14034 1802691E
	v_pk_mul_f32 v[54:55], v[30:31], v[54:55]                  // 000000008E90: D3B14036 18026D1E
	v_pk_mul_f32 v[56:57], v[30:31], v[56:57]                  // 000000008E98: D3B14038 1802711E
	v_pk_mul_f32 v[58:59], v[30:31], v[58:59]                  // 000000008EA0: D3B1403A 1802751E
	v_pk_mul_f32 v[60:61], v[30:31], v[60:61]                  // 000000008EA8: D3B1403C 1802791E
	v_pk_mul_f32 v[62:63], v[30:31], v[62:63]                  // 000000008EB0: D3B1403E 18027D1E
	v_pk_mul_f32 v[64:65], v[30:31], v[64:65]                  // 000000008EB8: D3B14040 1802811E
	v_pk_mul_f32 v[66:67], v[30:31], v[66:67]                  // 000000008EC0: D3B14042 1802851E
	v_pk_mul_f32 v[68:69], v[30:31], v[68:69]                  // 000000008EC8: D3B14044 1802891E
	v_pk_mul_f32 v[70:71], v[30:31], v[70:71]                  // 000000008ED0: D3B14046 18028D1E
	v_pk_mul_f32 v[72:73], v[30:31], v[72:73]                  // 000000008ED8: D3B14048 1802911E
	v_pk_mul_f32 v[74:75], v[30:31], v[74:75]                  // 000000008EE0: D3B1404A 1802951E
	v_pk_mul_f32 v[76:77], v[30:31], v[76:77]                  // 000000008EE8: D3B1404C 1802991E
	v_pk_mul_f32 v[78:79], v[30:31], v[78:79]                  // 000000008EF0: D3B1404E 18029D1E
	v_pk_mul_f32 v[80:81], v[30:31], v[80:81]                  // 000000008EF8: D3B14050 1802A11E
	v_pk_mul_f32 v[82:83], v[30:31], v[82:83]                  // 000000008F00: D3B14052 1802A51E
	v_pk_mul_f32 v[84:85], v[30:31], v[84:85]                  // 000000008F08: D3B14054 1802A91E
	v_pk_mul_f32 v[86:87], v[30:31], v[86:87]                  // 000000008F10: D3B14056 1802AD1E
	v_pk_mul_f32 v[88:89], v[30:31], v[88:89]                  // 000000008F18: D3B14058 1802B11E
	v_pk_mul_f32 v[90:91], v[30:31], v[90:91]                  // 000000008F20: D3B1405A 1802B51E
	v_pk_mul_f32 v[92:93], v[30:31], v[92:93]                  // 000000008F28: D3B1405C 1802B91E
	v_pk_mul_f32 v[94:95], v[30:31], v[94:95]                  // 000000008F30: D3B1405E 1802BD1E
	v_pk_mul_f32 v[96:97], v[30:31], v[96:97]                  // 000000008F38: D3B14060 1802C11E
	v_pk_mul_f32 v[98:99], v[30:31], v[98:99]                  // 000000008F40: D3B14062 1802C51E
	v_pk_mul_f32 v[100:101], v[30:31], v[100:101]              // 000000008F48: D3B14064 1802C91E
	v_pk_mul_f32 v[102:103], v[30:31], v[102:103]              // 000000008F50: D3B14066 1802CD1E
	v_pk_mul_f32 v[104:105], v[30:31], v[104:105]              // 000000008F58: D3B14068 1802D11E
	v_pk_mul_f32 v[106:107], v[30:31], v[106:107]              // 000000008F60: D3B1406A 1802D51E
	v_pk_mul_f32 v[108:109], v[30:31], v[108:109]              // 000000008F68: D3B1406C 1802D91E
	v_pk_mul_f32 v[110:111], v[30:31], v[110:111]              // 000000008F70: D3B1406E 1802DD1E
	v_pk_mul_f32 v[112:113], v[30:31], v[112:113]              // 000000008F78: D3B14070 1802E11E
	v_pk_mul_f32 v[114:115], v[30:31], v[114:115]              // 000000008F80: D3B14072 1802E51E
	v_pk_mul_f32 v[116:117], v[30:31], v[116:117]              // 000000008F88: D3B14074 1802E91E
	v_pk_mul_f32 v[118:119], v[30:31], v[118:119]              // 000000008F90: D3B14076 1802ED1E
	v_pk_mul_f32 v[120:121], v[30:31], v[120:121]              // 000000008F98: D3B14078 1802F11E
	v_pk_mul_f32 v[122:123], v[30:31], v[122:123]              // 000000008FA0: D3B1407A 1802F51E
	v_pk_mul_f32 v[124:125], v[30:31], v[124:125]              // 000000008FA8: D3B1407C 1802F91E
	v_pk_mul_f32 v[126:127], v[30:31], v[126:127]              // 000000008FB0: D3B1407E 1802FD1E
	v_pk_mul_f32 v[128:129], v[30:31], v[128:129]              // 000000008FB8: D3B14080 1803011E
	v_pk_mul_f32 v[130:131], v[30:31], v[130:131]              // 000000008FC0: D3B14082 1803051E
	v_pk_mul_f32 v[132:133], v[30:31], v[132:133]              // 000000008FC8: D3B14084 1803091E
	v_pk_mul_f32 v[134:135], v[30:31], v[134:135]              // 000000008FD0: D3B14086 18030D1E
	v_pk_mul_f32 v[136:137], v[30:31], v[136:137]              // 000000008FD8: D3B14088 1803111E
	v_pk_mul_f32 v[138:139], v[30:31], v[138:139]              // 000000008FE0: D3B1408A 1803151E
	v_pk_mul_f32 v[140:141], v[30:31], v[140:141]              // 000000008FE8: D3B1408C 1803191E
	v_pk_mul_f32 v[142:143], v[30:31], v[142:143]              // 000000008FF0: D3B1408E 18031D1E
	v_pk_mul_f32 v[144:145], v[30:31], v[144:145]              // 000000008FF8: D3B14090 1803211E
	v_pk_mul_f32 v[146:147], v[30:31], v[146:147]              // 000000009000: D3B14092 1803251E
	v_pk_mul_f32 v[148:149], v[30:31], v[148:149]              // 000000009008: D3B14094 1803291E
	v_pk_mul_f32 v[150:151], v[30:31], v[150:151]              // 000000009010: D3B14096 18032D1E
	v_pk_mul_f32 v[152:153], v[30:31], v[152:153]              // 000000009018: D3B14098 1803311E
	v_pk_mul_f32 v[154:155], v[30:31], v[154:155]              // 000000009020: D3B1409A 1803351E
	v_pk_mul_f32 v[156:157], v[30:31], v[156:157]              // 000000009028: D3B1409C 1803391E
	v_pk_mul_f32 v[158:159], v[30:31], v[158:159]              // 000000009030: D3B1409E 18033D1E
	v_pk_mul_f32 v[160:161], v[30:31], v[160:161]              // 000000009038: D3B140A0 1803411E
	v_pk_mul_f32 v[162:163], v[30:31], v[162:163]              // 000000009040: D3B140A2 1803451E
	v_pk_mul_f32 v[164:165], v[30:31], v[164:165]              // 000000009048: D3B140A4 1803491E
	v_pk_mul_f32 v[166:167], v[30:31], v[166:167]              // 000000009050: D3B140A6 18034D1E
	v_pk_mul_f32 v[168:169], v[30:31], v[168:169]              // 000000009058: D3B140A8 1803511E
	v_pk_mul_f32 v[170:171], v[30:31], v[170:171]              // 000000009060: D3B140AA 1803551E
	v_pk_mul_f32 v[172:173], v[30:31], v[172:173]              // 000000009068: D3B140AC 1803591E
	v_pk_mul_f32 v[174:175], v[30:31], v[174:175]              // 000000009070: D3B140AE 18035D1E
	v_pk_mul_f32 v[176:177], v[30:31], v[176:177]              // 000000009078: D3B140B0 1803611E
	s_waitcnt lgkmcnt(4)                                       // 000000009080: BF8CC47F
	v_mfma_f32_16x16x32_bf16 v[50:53], a[144:147], v[42:45], v[50:53]// 000000009084: D3B50032 0CCA5590
	v_mfma_f32_16x16x32_bf16 v[54:57], a[148:151], v[42:45], v[54:57]// 00000000908C: D3B50036 0CDA5594
	v_mfma_f32_16x16x32_bf16 v[58:61], a[152:155], v[42:45], v[58:61]// 000000009094: D3B5003A 0CEA5598
	v_mfma_f32_16x16x32_bf16 v[62:65], a[156:159], v[42:45], v[62:65]// 00000000909C: D3B5003E 0CFA559C
	v_mfma_f32_16x16x32_bf16 v[66:69], a[160:163], v[42:45], v[66:69]// 0000000090A4: D3B50042 0D0A55A0
	v_mfma_f32_16x16x32_bf16 v[70:73], a[164:167], v[42:45], v[70:73]// 0000000090AC: D3B50046 0D1A55A4
	v_mfma_f32_16x16x32_bf16 v[74:77], a[168:171], v[42:45], v[74:77]// 0000000090B4: D3B5004A 0D2A55A8
	v_mfma_f32_16x16x32_bf16 v[78:81], a[172:175], v[42:45], v[78:81]// 0000000090BC: D3B5004E 0D3A55AC
	v_mfma_f32_16x16x32_bf16 v[82:85], a[176:179], v[42:45], v[82:85]// 0000000090C4: D3B50052 0D4A55B0
	v_mfma_f32_16x16x32_bf16 v[86:89], a[180:183], v[42:45], v[86:89]// 0000000090CC: D3B50056 0D5A55B4
	v_mfma_f32_16x16x32_bf16 v[90:93], a[184:187], v[42:45], v[90:93]// 0000000090D4: D3B5005A 0D6A55B8
	v_mfma_f32_16x16x32_bf16 v[94:97], a[188:191], v[42:45], v[94:97]// 0000000090DC: D3B5005E 0D7A55BC
	v_mfma_f32_16x16x32_bf16 v[98:101], a[192:195], v[42:45], v[98:101]// 0000000090E4: D3B50062 0D8A55C0
	v_mfma_f32_16x16x32_bf16 v[102:105], a[196:199], v[42:45], v[102:105]// 0000000090EC: D3B50066 0D9A55C4
	v_mfma_f32_16x16x32_bf16 v[106:109], a[200:203], v[42:45], v[106:109]// 0000000090F4: D3B5006A 0DAA55C8
	v_mfma_f32_16x16x32_bf16 v[110:113], a[204:207], v[42:45], v[110:113]// 0000000090FC: D3B5006E 0DBA55CC
	ds_read_b64_tr_b16 a[144:145], v14 offset:8192             // 000000009104: DBC62000 9000000E
	ds_read_b64_tr_b16 a[146:147], v14 offset:8448             // 00000000910C: DBC62100 9200000E
	ds_read_b64_tr_b16 a[148:149], v15 offset:8192             // 000000009114: DBC62000 9400000F
	ds_read_b64_tr_b16 a[150:151], v15 offset:8448             // 00000000911C: DBC62100 9600000F
	ds_read_b64_tr_b16 a[152:153], v14 offset:9216             // 000000009124: DBC62400 9800000E
	ds_read_b64_tr_b16 a[154:155], v14 offset:9472             // 00000000912C: DBC62500 9A00000E
	ds_read_b64_tr_b16 a[156:157], v15 offset:9216             // 000000009134: DBC62400 9C00000F
	ds_read_b64_tr_b16 a[158:159], v15 offset:9472             // 00000000913C: DBC62500 9E00000F
	ds_read_b64_tr_b16 a[160:161], v14 offset:10240            // 000000009144: DBC62800 A000000E
	ds_read_b64_tr_b16 a[162:163], v14 offset:10496            // 00000000914C: DBC62900 A200000E
	ds_read_b64_tr_b16 a[164:165], v15 offset:10240            // 000000009154: DBC62800 A400000F
	ds_read_b64_tr_b16 a[166:167], v15 offset:10496            // 00000000915C: DBC62900 A600000F
	ds_read_b64_tr_b16 a[168:169], v14 offset:11264            // 000000009164: DBC62C00 A800000E
	ds_read_b64_tr_b16 a[170:171], v14 offset:11520            // 00000000916C: DBC62D00 AA00000E
	ds_read_b64_tr_b16 a[172:173], v15 offset:11264            // 000000009174: DBC62C00 AC00000F
	ds_read_b64_tr_b16 a[174:175], v15 offset:11520            // 00000000917C: DBC62D00 AE00000F
	ds_read_b64_tr_b16 a[176:177], v14 offset:12288            // 000000009184: DBC63000 B000000E
	ds_read_b64_tr_b16 a[178:179], v14 offset:12544            // 00000000918C: DBC63100 B200000E
	ds_read_b64_tr_b16 a[180:181], v15 offset:12288            // 000000009194: DBC63000 B400000F
	ds_read_b64_tr_b16 a[182:183], v15 offset:12544            // 00000000919C: DBC63100 B600000F
	ds_read_b64_tr_b16 a[184:185], v14 offset:13312            // 0000000091A4: DBC63400 B800000E
	ds_read_b64_tr_b16 a[186:187], v14 offset:13568            // 0000000091AC: DBC63500 BA00000E
	ds_read_b64_tr_b16 a[188:189], v15 offset:13312            // 0000000091B4: DBC63400 BC00000F
	ds_read_b64_tr_b16 a[190:191], v15 offset:13568            // 0000000091BC: DBC63500 BE00000F
	ds_read_b64_tr_b16 a[192:193], v14 offset:14336            // 0000000091C4: DBC63800 C000000E
	ds_read_b64_tr_b16 a[194:195], v14 offset:14592            // 0000000091CC: DBC63900 C200000E
	ds_read_b64_tr_b16 a[196:197], v15 offset:14336            // 0000000091D4: DBC63800 C400000F
	ds_read_b64_tr_b16 a[198:199], v15 offset:14592            // 0000000091DC: DBC63900 C600000F
	ds_read_b64_tr_b16 a[200:201], v14 offset:15360            // 0000000091E4: DBC63C00 C800000E
	ds_read_b64_tr_b16 a[202:203], v14 offset:15616            // 0000000091EC: DBC63D00 CA00000E
	ds_read_b64_tr_b16 a[204:205], v15 offset:15360            // 0000000091F4: DBC63C00 CC00000F
	ds_read_b64_tr_b16 a[206:207], v15 offset:15616            // 0000000091FC: DBC63D00 CE00000F
	s_waitcnt vmcnt(0)                                         // 000000009204: BF8C0F70
	s_barrier                                                  // 000000009208: BF8A0000
	s_waitcnt lgkmcnt(0)                                       // 00000000920C: BF8CC07F
	v_mfma_f32_16x16x32_bf16 v[114:117], a[144:147], v[42:45], v[114:117]// 000000009210: D3B50072 0DCA5590
	ds_read_b128 a[72:75], v18                                 // 000000009218: DBFE0000 48000012
	ds_read_b128 a[76:79], v18 offset:1024                     // 000000009220: DBFE0400 4C000012
	v_mfma_f32_16x16x32_bf16 v[118:121], a[148:151], v[42:45], v[118:121]// 000000009228: D3B50076 0DDA5594
	ds_read_b128 a[80:83], v18 offset:2048                     // 000000009230: DBFE0800 50000012
	ds_read_b128 a[84:87], v18 offset:3072                     // 000000009238: DBFE0C00 54000012
	v_mfma_f32_16x16x32_bf16 v[122:125], a[152:155], v[42:45], v[122:125]// 000000009240: D3B5007A 0DEA5598
	ds_read_b128 a[88:91], v18 offset:4096                     // 000000009248: DBFE1000 58000012
	ds_read_b128 a[92:95], v18 offset:5120                     // 000000009250: DBFE1400 5C000012
	v_mfma_f32_16x16x32_bf16 v[126:129], a[156:159], v[42:45], v[126:129]// 000000009258: D3B5007E 0DFA559C
	ds_read_b128 a[96:99], v18 offset:6144                     // 000000009260: DBFE1800 60000012
	ds_read_b128 a[100:103], v18 offset:7168                   // 000000009268: DBFE1C00 64000012
	v_mfma_f32_16x16x32_bf16 v[130:133], a[160:163], v[42:45], v[130:133]// 000000009270: D3B50082 0E0A55A0
	ds_read_b128 a[104:107], v18 offset:8192                   // 000000009278: DBFE2000 68000012
	ds_read_b128 a[108:111], v18 offset:9216                   // 000000009280: DBFE2400 6C000012
	v_mfma_f32_16x16x32_bf16 v[134:137], a[164:167], v[42:45], v[134:137]// 000000009288: D3B50086 0E1A55A4
	ds_read_b128 a[112:115], v18 offset:10240                  // 000000009290: DBFE2800 70000012
	ds_read_b128 a[116:119], v18 offset:11264                  // 000000009298: DBFE2C00 74000012
	v_mfma_f32_16x16x32_bf16 v[138:141], a[168:171], v[42:45], v[138:141]// 0000000092A0: D3B5008A 0E2A55A8
	ds_read_b128 a[120:123], v18 offset:12288                  // 0000000092A8: DBFE3000 78000012
	ds_read_b128 a[124:127], v18 offset:13312                  // 0000000092B0: DBFE3400 7C000012
	v_mfma_f32_16x16x32_bf16 v[142:145], a[172:175], v[42:45], v[142:145]// 0000000092B8: D3B5008E 0E3A55AC
	ds_read_b128 a[128:131], v18 offset:14336                  // 0000000092C0: DBFE3800 80000012
	ds_read_b128 a[132:135], v18 offset:15360                  // 0000000092C8: DBFE3C00 84000012
	v_mfma_f32_16x16x32_bf16 v[146:149], a[176:179], v[42:45], v[146:149]// 0000000092D0: D3B50092 0E4A55B0
	ds_read_b128 a[136:139], v18 offset:16384                  // 0000000092D8: DBFE4000 88000012
	ds_read_b128 a[140:143], v18 offset:17408                  // 0000000092E0: DBFE4400 8C000012
	v_mfma_f32_16x16x32_bf16 v[150:153], a[180:183], v[42:45], v[150:153]// 0000000092E8: D3B50096 0E5A55B4
	v_mfma_f32_16x16x32_bf16 v[154:157], a[184:187], v[42:45], v[154:157]// 0000000092F0: D3B5009A 0E6A55B8
	v_mfma_f32_16x16x32_bf16 v[158:161], a[188:191], v[42:45], v[158:161]// 0000000092F8: D3B5009E 0E7A55BC
	v_mfma_f32_16x16x32_bf16 v[162:165], a[192:195], v[42:45], v[162:165]// 000000009300: D3B500A2 0E8A55C0
	v_mfma_f32_16x16x32_bf16 v[166:169], a[196:199], v[42:45], v[166:169]// 000000009308: D3B500A6 0E9A55C4
	v_mfma_f32_16x16x32_bf16 v[170:173], a[200:203], v[42:45], v[170:173]// 000000009310: D3B500AA 0EAA55C8
	v_mfma_f32_16x16x32_bf16 v[174:177], a[204:207], v[42:45], v[174:177]// 000000009318: D3B500AE 0EBA55CC
	s_branch label_8C54                                        // 000000009320: BF82078C

0000000000009324 <label_6E24>:
	s_sub_u32 s56, s71, 2                                      // 000000009324: 80B88247
	s_mul_i32 s56, s84, s56                                    // 000000009328: 92383854
	s_add_u32 s83, s56, s83                                    // 00000000932C: 80535338
	s_cmp_le_i32 s83, s82                                      // 000000009330: BF055253
	s_cbranch_scc1 label_6F30                                  // 000000009334: BF85003E
	v_mov_b32_e32 v28, s82                                     // 000000009338: 7E380252
	s_lshl_b32 s56, s2, 1                                      // 00000000933C: 8E388102
	s_lshr_b32 s57, s7, 1                                      // 000000009340: 8F398107
	s_add_u32 s56, s56, s57                                    // 000000009344: 80383938
	v_add_u32_e32 v28, s56, v28                                // 000000009348: 68383838
	s_sub_u32 s56, s83, 31                                     // 00000000934C: 80B89F53
	v_lshrrev_b32_e32 v18, 4, v0                               // 000000009350: 20240084
	v_mul_i32_i24_e32 v18, 4, v18                              // 000000009354: 0C242484
	v_add_u32_e32 v18, s56, v18                                // 000000009358: 68242438
	v_add_u32_e32 v19, 1, v18                                  // 00000000935C: 68262481
	v_add_u32_e32 v20, 2, v18                                  // 000000009360: 68282482
	v_add_u32_e32 v21, 3, v18                                  // 000000009364: 682A2483
	v_mov_b32_e32 v29, 0xff800000                              // 000000009368: 7E3A02FF FF800000
	v_cmp_le_u32_e64 s[36:37], v18, v28                        // 000000009370: D0CB0024 00023912
	v_add_u32_e32 v18, 16, v18                                 // 000000009378: 68242490
	s_nop 0                                                    // 00000000937C: BF800000
	v_cndmask_b32_e64 v34, v29, v34, s[36:37]                  // 000000009380: D1000022 0092451D
	v_cmp_le_u32_e64 s[36:37], v19, v28                        // 000000009388: D0CB0024 00023913
	v_add_u32_e32 v19, 16, v19                                 // 000000009390: 68262690
	s_nop 0                                                    // 000000009394: BF800000
	v_cndmask_b32_e64 v35, v29, v35, s[36:37]                  // 000000009398: D1000023 0092471D
	v_cmp_le_u32_e64 s[36:37], v20, v28                        // 0000000093A0: D0CB0024 00023914
	v_add_u32_e32 v20, 16, v20                                 // 0000000093A8: 68282890
	s_nop 0                                                    // 0000000093AC: BF800000
	v_cndmask_b32_e64 v36, v29, v36, s[36:37]                  // 0000000093B0: D1000024 0092491D
	v_cmp_le_u32_e64 s[36:37], v21, v28                        // 0000000093B8: D0CB0024 00023915
	v_add_u32_e32 v21, 16, v21                                 // 0000000093C0: 682A2A90
	s_nop 0                                                    // 0000000093C4: BF800000
	v_cndmask_b32_e64 v37, v29, v37, s[36:37]                  // 0000000093C8: D1000025 00924B1D
	v_cmp_le_u32_e64 s[36:37], v18, v28                        // 0000000093D0: D0CB0024 00023912
	v_add_u32_e32 v18, 16, v18                                 // 0000000093D8: 68242490
	s_nop 0                                                    // 0000000093DC: BF800000
	v_cndmask_b32_e64 v38, v29, v38, s[36:37]                  // 0000000093E0: D1000026 00924D1D
	v_cmp_le_u32_e64 s[36:37], v19, v28                        // 0000000093E8: D0CB0024 00023913
	v_add_u32_e32 v19, 16, v19                                 // 0000000093F0: 68262690
	s_nop 0                                                    // 0000000093F4: BF800000
	v_cndmask_b32_e64 v39, v29, v39, s[36:37]                  // 0000000093F8: D1000027 00924F1D
	v_cmp_le_u32_e64 s[36:37], v20, v28                        // 000000009400: D0CB0024 00023914
	v_add_u32_e32 v20, 16, v20                                 // 000000009408: 68282890
	s_nop 0                                                    // 00000000940C: BF800000
	v_cndmask_b32_e64 v40, v29, v40, s[36:37]                  // 000000009410: D1000028 0092511D
	v_cmp_le_u32_e64 s[36:37], v21, v28                        // 000000009418: D0CB0024 00023915
	v_add_u32_e32 v21, 16, v21                                 // 000000009420: 682A2A90
	s_nop 0                                                    // 000000009424: BF800000
	v_cndmask_b32_e64 v41, v29, v41, s[36:37]                  // 000000009428: D1000029 0092531D

0000000000009430 <label_6F30>:
	s_add_u32 s83, s84, s83                                    // 000000009430: 80535354
	s_nop 2                                                    // 000000009434: BF800002
	v_mov_b32_e32 v29, v34                                     // 000000009438: 7E3A0322
	v_max3_f32 v29, v34, v35, v29                              // 00000000943C: D1D3001D 04764722
	v_max3_f32 v29, v36, v37, v29                              // 000000009444: D1D3001D 04764B24
	v_max3_f32 v29, v38, v39, v29                              // 00000000944C: D1D3001D 04764F26
	v_max3_f32 v29, v40, v41, v29                              // 000000009454: D1D3001D 04765328
	v_mov_b32_e32 v28, v29                                     // 00000000945C: 7E38031D
	v_mov_b32_e32 v29, v29                                     // 000000009460: 7E3A031D
	s_nop 1                                                    // 000000009464: BF800001
	v_permlane16_swap_b32_e32 v28, v29                         // 000000009468: 7E38B31D
	v_mov_b32_e32 v31, v28                                     // 00000000946C: 7E3E031C
	v_mov_b32_e32 v30, v29                                     // 000000009470: 7E3C031D
	s_nop 1                                                    // 000000009474: BF800001
	v_permlane32_swap_b32_e32 v28, v29                         // 000000009478: 7E38B51D
	v_permlane32_swap_b32_e32 v30, v31                         // 00000000947C: 7E3CB51F
	v_max3_f32 v29, v28, v29, v29                              // 000000009480: D1D3001D 04763B1C
	v_max3_f32 v29, v30, v31, v29                              // 000000009488: D1D3001D 04763F1E
	v_mov_b32_e32 v28, 0xff800000                              // 000000009490: 7E3802FF FF800000
	v_cmp_eq_u32_e64 s[36:37], v28, v2                         // 000000009498: D0CA0024 0002051C
	v_max_f32_e32 v29, v29, v2                                 // 0000000094A0: 163A051D
	v_sub_f32_e32 v16, v2, v29                                 // 0000000094A4: 04203B02
	v_cndmask_b32_e64 v16, v16, 0, s[36:37]                    // 0000000094A8: D1000010 00910110
	v_mov_b32_e32 v2, v29                                      // 0000000094B0: 7E04031D
	v_mul_f32_e32 v29, s5, v29                                 // 0000000094B4: 0A3A3A05
	v_mul_f32_e32 v16, s5, v16                                 // 0000000094B8: 0A202005
	v_exp_f32_e32 v16, v16                                     // 0000000094BC: 7E204110
	v_fma_f32 v34, v34, s5, -v29                               // 0000000094C0: D1CB0022 84740B22
	v_fma_f32 v35, v35, s5, -v29                               // 0000000094C8: D1CB0023 84740B23
	v_fma_f32 v36, v36, s5, -v29                               // 0000000094D0: D1CB0024 84740B24
	v_fma_f32 v37, v37, s5, -v29                               // 0000000094D8: D1CB0025 84740B25
	v_fma_f32 v38, v38, s5, -v29                               // 0000000094E0: D1CB0026 84740B26
	v_fma_f32 v39, v39, s5, -v29                               // 0000000094E8: D1CB0027 84740B27
	v_fma_f32 v40, v40, s5, -v29                               // 0000000094F0: D1CB0028 84740B28
	v_fma_f32 v41, v41, s5, -v29                               // 0000000094F8: D1CB0029 84740B29
	v_exp_f32_e32 v34, v34                                     // 000000009500: 7E444122
	v_exp_f32_e32 v35, v35                                     // 000000009504: 7E464123
	v_exp_f32_e32 v36, v36                                     // 000000009508: 7E484124
	v_exp_f32_e32 v37, v37                                     // 00000000950C: 7E4A4125
	v_exp_f32_e32 v38, v38                                     // 000000009510: 7E4C4126
	v_exp_f32_e32 v39, v39                                     // 000000009514: 7E4E4127
	v_exp_f32_e32 v40, v40                                     // 000000009518: 7E504128
	v_exp_f32_e32 v41, v41                                     // 00000000951C: 7E524129
	v_mul_f32_e32 v4, v16, v4                                  // 000000009520: 0A080910
	v_mov_b32_e32 v28, v34                                     // 000000009524: 7E380322
	v_add_f32_e32 v28, v35, v28                                // 000000009528: 02383923
	v_add_f32_e32 v28, v36, v28                                // 00000000952C: 02383924
	v_add_f32_e32 v28, v37, v28                                // 000000009530: 02383925
	v_add_f32_e32 v28, v38, v28                                // 000000009534: 02383926
	;; [unrolled: 1-line block ×3, first 2 shown]
	v_add_f32_e32 v28, v40, v28                                // 00000000953C: 02383928
	v_add_f32_e32 v28, v41, v28                                // 000000009540: 02383929
	v_add_f32_e32 v4, v28, v4                                  // 000000009544: 0208091C
	v_cvt_pk_bf16_f32 v34, v34, v35                            // 000000009548: D2680022 00024722
	v_cvt_pk_bf16_f32 v35, v36, v37                            // 000000009550: D2680023 00024B24
	v_cvt_pk_bf16_f32 v36, v38, v39                            // 000000009558: D2680024 00024F26
	v_cvt_pk_bf16_f32 v37, v40, v41                            // 000000009560: D2680025 00025328
	s_nop 0                                                    // 000000009568: BF800000
	v_permlane32_swap_b32_e32 v34, v36                         // 00000000956C: 7E44B524
	v_permlane32_swap_b32_e32 v35, v37                         // 000000009570: 7E46B525
	s_nop 0                                                    // 000000009574: BF800000
	v_permlane16_swap_b32_e32 v34, v36                         // 000000009578: 7E44B324
	v_permlane16_swap_b32_e32 v35, v37                         // 00000000957C: 7E46B325
	s_waitcnt lgkmcnt(4)                                       // 000000009580: BF8CC47F
	v_mfma_f32_16x16x32_bf16 v[50:53], a[144:147], v[42:45], v[50:53]// 000000009584: D3B50032 0CCA5590
	v_mfma_f32_16x16x32_bf16 v[54:57], a[148:151], v[42:45], v[54:57]// 00000000958C: D3B50036 0CDA5594
	v_mfma_f32_16x16x32_bf16 v[58:61], a[152:155], v[42:45], v[58:61]// 000000009594: D3B5003A 0CEA5598
	v_mfma_f32_16x16x32_bf16 v[62:65], a[156:159], v[42:45], v[62:65]// 00000000959C: D3B5003E 0CFA559C
	v_mfma_f32_16x16x32_bf16 v[66:69], a[160:163], v[42:45], v[66:69]// 0000000095A4: D3B50042 0D0A55A0
	v_mfma_f32_16x16x32_bf16 v[70:73], a[164:167], v[42:45], v[70:73]// 0000000095AC: D3B50046 0D1A55A4
	v_mfma_f32_16x16x32_bf16 v[74:77], a[168:171], v[42:45], v[74:77]// 0000000095B4: D3B5004A 0D2A55A8
	v_mfma_f32_16x16x32_bf16 v[78:81], a[172:175], v[42:45], v[78:81]// 0000000095BC: D3B5004E 0D3A55AC
	v_mfma_f32_16x16x32_bf16 v[82:85], a[176:179], v[42:45], v[82:85]// 0000000095C4: D3B50052 0D4A55B0
	v_mfma_f32_16x16x32_bf16 v[86:89], a[180:183], v[42:45], v[86:89]// 0000000095CC: D3B50056 0D5A55B4
	v_mfma_f32_16x16x32_bf16 v[90:93], a[184:187], v[42:45], v[90:93]// 0000000095D4: D3B5005A 0D6A55B8
	v_mfma_f32_16x16x32_bf16 v[94:97], a[188:191], v[42:45], v[94:97]// 0000000095DC: D3B5005E 0D7A55BC
	v_mfma_f32_16x16x32_bf16 v[98:101], a[192:195], v[42:45], v[98:101]// 0000000095E4: D3B50062 0D8A55C0
	v_mfma_f32_16x16x32_bf16 v[102:105], a[196:199], v[42:45], v[102:105]// 0000000095EC: D3B50066 0D9A55C4
	v_mfma_f32_16x16x32_bf16 v[106:109], a[200:203], v[42:45], v[106:109]// 0000000095F4: D3B5006A 0DAA55C8
	v_mfma_f32_16x16x32_bf16 v[110:113], a[204:207], v[42:45], v[110:113]// 0000000095FC: D3B5006E 0DBA55CC
	ds_read_b64_tr_b16 a[144:145], v14 offset:8192             // 000000009604: DBC62000 9000000E
	ds_read_b64_tr_b16 a[146:147], v14 offset:8448             // 00000000960C: DBC62100 9200000E
	ds_read_b64_tr_b16 a[148:149], v15 offset:8192             // 000000009614: DBC62000 9400000F
	ds_read_b64_tr_b16 a[150:151], v15 offset:8448             // 00000000961C: DBC62100 9600000F
	ds_read_b64_tr_b16 a[152:153], v14 offset:9216             // 000000009624: DBC62400 9800000E
	ds_read_b64_tr_b16 a[154:155], v14 offset:9472             // 00000000962C: DBC62500 9A00000E
	ds_read_b64_tr_b16 a[156:157], v15 offset:9216             // 000000009634: DBC62400 9C00000F
	ds_read_b64_tr_b16 a[158:159], v15 offset:9472             // 00000000963C: DBC62500 9E00000F
	ds_read_b64_tr_b16 a[160:161], v14 offset:10240            // 000000009644: DBC62800 A000000E
	ds_read_b64_tr_b16 a[162:163], v14 offset:10496            // 00000000964C: DBC62900 A200000E
	ds_read_b64_tr_b16 a[164:165], v15 offset:10240            // 000000009654: DBC62800 A400000F
	ds_read_b64_tr_b16 a[166:167], v15 offset:10496            // 00000000965C: DBC62900 A600000F
	ds_read_b64_tr_b16 a[168:169], v14 offset:11264            // 000000009664: DBC62C00 A800000E
	ds_read_b64_tr_b16 a[170:171], v14 offset:11520            // 00000000966C: DBC62D00 AA00000E
	ds_read_b64_tr_b16 a[172:173], v15 offset:11264            // 000000009674: DBC62C00 AC00000F
	ds_read_b64_tr_b16 a[174:175], v15 offset:11520            // 00000000967C: DBC62D00 AE00000F
	ds_read_b64_tr_b16 a[176:177], v14 offset:12288            // 000000009684: DBC63000 B000000E
	ds_read_b64_tr_b16 a[178:179], v14 offset:12544            // 00000000968C: DBC63100 B200000E
	ds_read_b64_tr_b16 a[180:181], v15 offset:12288            // 000000009694: DBC63000 B400000F
	ds_read_b64_tr_b16 a[182:183], v15 offset:12544            // 00000000969C: DBC63100 B600000F
	ds_read_b64_tr_b16 a[184:185], v14 offset:13312            // 0000000096A4: DBC63400 B800000E
	ds_read_b64_tr_b16 a[186:187], v14 offset:13568            // 0000000096AC: DBC63500 BA00000E
	ds_read_b64_tr_b16 a[188:189], v15 offset:13312            // 0000000096B4: DBC63400 BC00000F
	ds_read_b64_tr_b16 a[190:191], v15 offset:13568            // 0000000096BC: DBC63500 BE00000F
	ds_read_b64_tr_b16 a[192:193], v14 offset:14336            // 0000000096C4: DBC63800 C000000E
	ds_read_b64_tr_b16 a[194:195], v14 offset:14592            // 0000000096CC: DBC63900 C200000E
	ds_read_b64_tr_b16 a[196:197], v15 offset:14336            // 0000000096D4: DBC63800 C400000F
	ds_read_b64_tr_b16 a[198:199], v15 offset:14592            // 0000000096DC: DBC63900 C600000F
	ds_read_b64_tr_b16 a[200:201], v14 offset:15360            // 0000000096E4: DBC63C00 C800000E
	ds_read_b64_tr_b16 a[202:203], v14 offset:15616            // 0000000096EC: DBC63D00 CA00000E
	ds_read_b64_tr_b16 a[204:205], v15 offset:15360            // 0000000096F4: DBC63C00 CC00000F
	ds_read_b64_tr_b16 a[206:207], v15 offset:15616            // 0000000096FC: DBC63D00 CE00000F
	s_waitcnt lgkmcnt(0)                                       // 000000009704: BF8CC07F
	v_mfma_f32_16x16x32_bf16 v[114:117], a[144:147], v[42:45], v[114:117]// 000000009708: D3B50072 0DCA5590
	v_mfma_f32_16x16x32_bf16 v[118:121], a[148:151], v[42:45], v[118:121]// 000000009710: D3B50076 0DDA5594
	v_mfma_f32_16x16x32_bf16 v[122:125], a[152:155], v[42:45], v[122:125]// 000000009718: D3B5007A 0DEA5598
	v_mfma_f32_16x16x32_bf16 v[126:129], a[156:159], v[42:45], v[126:129]// 000000009720: D3B5007E 0DFA559C
	v_mfma_f32_16x16x32_bf16 v[130:133], a[160:163], v[42:45], v[130:133]// 000000009728: D3B50082 0E0A55A0
	v_mfma_f32_16x16x32_bf16 v[134:137], a[164:167], v[42:45], v[134:137]// 000000009730: D3B50086 0E1A55A4
	v_mfma_f32_16x16x32_bf16 v[138:141], a[168:171], v[42:45], v[138:141]// 000000009738: D3B5008A 0E2A55A8
	v_mfma_f32_16x16x32_bf16 v[142:145], a[172:175], v[42:45], v[142:145]// 000000009740: D3B5008E 0E3A55AC
	v_mfma_f32_16x16x32_bf16 v[146:149], a[176:179], v[42:45], v[146:149]// 000000009748: D3B50092 0E4A55B0
	v_mfma_f32_16x16x32_bf16 v[150:153], a[180:183], v[42:45], v[150:153]// 000000009750: D3B50096 0E5A55B4
	v_mfma_f32_16x16x32_bf16 v[154:157], a[184:187], v[42:45], v[154:157]// 000000009758: D3B5009A 0E6A55B8
	v_mfma_f32_16x16x32_bf16 v[158:161], a[188:191], v[42:45], v[158:161]// 000000009760: D3B5009E 0E7A55BC
	v_mfma_f32_16x16x32_bf16 v[162:165], a[192:195], v[42:45], v[162:165]// 000000009768: D3B500A2 0E8A55C0
	v_mfma_f32_16x16x32_bf16 v[166:169], a[196:199], v[42:45], v[166:169]// 000000009770: D3B500A6 0E9A55C4
	v_mfma_f32_16x16x32_bf16 v[170:173], a[200:203], v[42:45], v[170:173]// 000000009778: D3B500AA 0EAA55C8
	v_mfma_f32_16x16x32_bf16 v[174:177], a[204:207], v[42:45], v[174:177]// 000000009780: D3B500AE 0EBA55CC
	ds_read_b64_tr_b16 a[144:145], v8                          // 000000009788: DBC60000 90000008
	ds_read_b64_tr_b16 a[146:147], v8 offset:256               // 000000009790: DBC60100 92000008
	ds_read_b64_tr_b16 a[148:149], v9                          // 000000009798: DBC60000 94000009
	ds_read_b64_tr_b16 a[150:151], v9 offset:256               // 0000000097A0: DBC60100 96000009
	ds_read_b64_tr_b16 a[152:153], v8 offset:1024              // 0000000097A8: DBC60400 98000008
	ds_read_b64_tr_b16 a[154:155], v8 offset:1280              // 0000000097B0: DBC60500 9A000008
	ds_read_b64_tr_b16 a[156:157], v9 offset:1024              // 0000000097B8: DBC60400 9C000009
	ds_read_b64_tr_b16 a[158:159], v9 offset:1280              // 0000000097C0: DBC60500 9E000009
	ds_read_b64_tr_b16 a[160:161], v8 offset:2048              // 0000000097C8: DBC60800 A0000008
	ds_read_b64_tr_b16 a[162:163], v8 offset:2304              // 0000000097D0: DBC60900 A2000008
	ds_read_b64_tr_b16 a[164:165], v9 offset:2048              // 0000000097D8: DBC60800 A4000009
	ds_read_b64_tr_b16 a[166:167], v9 offset:2304              // 0000000097E0: DBC60900 A6000009
	ds_read_b64_tr_b16 a[168:169], v8 offset:3072              // 0000000097E8: DBC60C00 A8000008
	ds_read_b64_tr_b16 a[170:171], v8 offset:3328              // 0000000097F0: DBC60D00 AA000008
	ds_read_b64_tr_b16 a[172:173], v9 offset:3072              // 0000000097F8: DBC60C00 AC000009
	ds_read_b64_tr_b16 a[174:175], v9 offset:3328              // 000000009800: DBC60D00 AE000009
	ds_read_b64_tr_b16 a[176:177], v8 offset:4096              // 000000009808: DBC61000 B0000008
	ds_read_b64_tr_b16 a[178:179], v8 offset:4352              // 000000009810: DBC61100 B2000008
	ds_read_b64_tr_b16 a[180:181], v9 offset:4096              // 000000009818: DBC61000 B4000009
	ds_read_b64_tr_b16 a[182:183], v9 offset:4352              // 000000009820: DBC61100 B6000009
	ds_read_b64_tr_b16 a[184:185], v8 offset:5120              // 000000009828: DBC61400 B8000008
	ds_read_b64_tr_b16 a[186:187], v8 offset:5376              // 000000009830: DBC61500 BA000008
	ds_read_b64_tr_b16 a[188:189], v9 offset:5120              // 000000009838: DBC61400 BC000009
	ds_read_b64_tr_b16 a[190:191], v9 offset:5376              // 000000009840: DBC61500 BE000009
	ds_read_b64_tr_b16 a[192:193], v8 offset:6144              // 000000009848: DBC61800 C0000008
	ds_read_b64_tr_b16 a[194:195], v8 offset:6400              // 000000009850: DBC61900 C2000008
	ds_read_b64_tr_b16 a[196:197], v9 offset:6144              // 000000009858: DBC61800 C4000009
	ds_read_b64_tr_b16 a[198:199], v9 offset:6400              // 000000009860: DBC61900 C6000009
	ds_read_b64_tr_b16 a[200:201], v8 offset:7168              // 000000009868: DBC61C00 C8000008
	ds_read_b64_tr_b16 a[202:203], v8 offset:7424              // 000000009870: DBC61D00 CA000008
	ds_read_b64_tr_b16 a[204:205], v9 offset:7168              // 000000009878: DBC61C00 CC000009
	ds_read_b64_tr_b16 a[206:207], v9 offset:7424              // 000000009880: DBC61D00 CE000009
	v_mov_b32_e32 v30, v16                                     // 000000009888: 7E3C0310
	v_mov_b32_e32 v31, v16                                     // 00000000988C: 7E3E0310
	v_pk_mul_f32 v[50:51], v[30:31], v[50:51]                  // 000000009890: D3B14032 1802651E
	v_pk_mul_f32 v[52:53], v[30:31], v[52:53]                  // 000000009898: D3B14034 1802691E
	v_pk_mul_f32 v[54:55], v[30:31], v[54:55]                  // 0000000098A0: D3B14036 18026D1E
	v_pk_mul_f32 v[56:57], v[30:31], v[56:57]                  // 0000000098A8: D3B14038 1802711E
	v_pk_mul_f32 v[58:59], v[30:31], v[58:59]                  // 0000000098B0: D3B1403A 1802751E
	v_pk_mul_f32 v[60:61], v[30:31], v[60:61]                  // 0000000098B8: D3B1403C 1802791E
	v_pk_mul_f32 v[62:63], v[30:31], v[62:63]                  // 0000000098C0: D3B1403E 18027D1E
	v_pk_mul_f32 v[64:65], v[30:31], v[64:65]                  // 0000000098C8: D3B14040 1802811E
	v_pk_mul_f32 v[66:67], v[30:31], v[66:67]                  // 0000000098D0: D3B14042 1802851E
	v_pk_mul_f32 v[68:69], v[30:31], v[68:69]                  // 0000000098D8: D3B14044 1802891E
	v_pk_mul_f32 v[70:71], v[30:31], v[70:71]                  // 0000000098E0: D3B14046 18028D1E
	v_pk_mul_f32 v[72:73], v[30:31], v[72:73]                  // 0000000098E8: D3B14048 1802911E
	v_pk_mul_f32 v[74:75], v[30:31], v[74:75]                  // 0000000098F0: D3B1404A 1802951E
	v_pk_mul_f32 v[76:77], v[30:31], v[76:77]                  // 0000000098F8: D3B1404C 1802991E
	v_pk_mul_f32 v[78:79], v[30:31], v[78:79]                  // 000000009900: D3B1404E 18029D1E
	v_pk_mul_f32 v[80:81], v[30:31], v[80:81]                  // 000000009908: D3B14050 1802A11E
	v_pk_mul_f32 v[82:83], v[30:31], v[82:83]                  // 000000009910: D3B14052 1802A51E
	v_pk_mul_f32 v[84:85], v[30:31], v[84:85]                  // 000000009918: D3B14054 1802A91E
	v_pk_mul_f32 v[86:87], v[30:31], v[86:87]                  // 000000009920: D3B14056 1802AD1E
	v_pk_mul_f32 v[88:89], v[30:31], v[88:89]                  // 000000009928: D3B14058 1802B11E
	v_pk_mul_f32 v[90:91], v[30:31], v[90:91]                  // 000000009930: D3B1405A 1802B51E
	v_pk_mul_f32 v[92:93], v[30:31], v[92:93]                  // 000000009938: D3B1405C 1802B91E
	v_pk_mul_f32 v[94:95], v[30:31], v[94:95]                  // 000000009940: D3B1405E 1802BD1E
	v_pk_mul_f32 v[96:97], v[30:31], v[96:97]                  // 000000009948: D3B14060 1802C11E
	v_pk_mul_f32 v[98:99], v[30:31], v[98:99]                  // 000000009950: D3B14062 1802C51E
	v_pk_mul_f32 v[100:101], v[30:31], v[100:101]              // 000000009958: D3B14064 1802C91E
	v_pk_mul_f32 v[102:103], v[30:31], v[102:103]              // 000000009960: D3B14066 1802CD1E
	v_pk_mul_f32 v[104:105], v[30:31], v[104:105]              // 000000009968: D3B14068 1802D11E
	v_pk_mul_f32 v[106:107], v[30:31], v[106:107]              // 000000009970: D3B1406A 1802D51E
	v_pk_mul_f32 v[108:109], v[30:31], v[108:109]              // 000000009978: D3B1406C 1802D91E
	v_pk_mul_f32 v[110:111], v[30:31], v[110:111]              // 000000009980: D3B1406E 1802DD1E
	v_pk_mul_f32 v[112:113], v[30:31], v[112:113]              // 000000009988: D3B14070 1802E11E
	v_pk_mul_f32 v[114:115], v[30:31], v[114:115]              // 000000009990: D3B14072 1802E51E
	v_pk_mul_f32 v[116:117], v[30:31], v[116:117]              // 000000009998: D3B14074 1802E91E
	v_pk_mul_f32 v[118:119], v[30:31], v[118:119]              // 0000000099A0: D3B14076 1802ED1E
	v_pk_mul_f32 v[120:121], v[30:31], v[120:121]              // 0000000099A8: D3B14078 1802F11E
	v_pk_mul_f32 v[122:123], v[30:31], v[122:123]              // 0000000099B0: D3B1407A 1802F51E
	v_pk_mul_f32 v[124:125], v[30:31], v[124:125]              // 0000000099B8: D3B1407C 1802F91E
	v_pk_mul_f32 v[126:127], v[30:31], v[126:127]              // 0000000099C0: D3B1407E 1802FD1E
	v_pk_mul_f32 v[128:129], v[30:31], v[128:129]              // 0000000099C8: D3B14080 1803011E
	v_pk_mul_f32 v[130:131], v[30:31], v[130:131]              // 0000000099D0: D3B14082 1803051E
	v_pk_mul_f32 v[132:133], v[30:31], v[132:133]              // 0000000099D8: D3B14084 1803091E
	v_pk_mul_f32 v[134:135], v[30:31], v[134:135]              // 0000000099E0: D3B14086 18030D1E
	v_pk_mul_f32 v[136:137], v[30:31], v[136:137]              // 0000000099E8: D3B14088 1803111E
	v_pk_mul_f32 v[138:139], v[30:31], v[138:139]              // 0000000099F0: D3B1408A 1803151E
	v_pk_mul_f32 v[140:141], v[30:31], v[140:141]              // 0000000099F8: D3B1408C 1803191E
	v_pk_mul_f32 v[142:143], v[30:31], v[142:143]              // 000000009A00: D3B1408E 18031D1E
	v_pk_mul_f32 v[144:145], v[30:31], v[144:145]              // 000000009A08: D3B14090 1803211E
	v_pk_mul_f32 v[146:147], v[30:31], v[146:147]              // 000000009A10: D3B14092 1803251E
	v_pk_mul_f32 v[148:149], v[30:31], v[148:149]              // 000000009A18: D3B14094 1803291E
	v_pk_mul_f32 v[150:151], v[30:31], v[150:151]              // 000000009A20: D3B14096 18032D1E
	v_pk_mul_f32 v[152:153], v[30:31], v[152:153]              // 000000009A28: D3B14098 1803311E
	v_pk_mul_f32 v[154:155], v[30:31], v[154:155]              // 000000009A30: D3B1409A 1803351E
	v_pk_mul_f32 v[156:157], v[30:31], v[156:157]              // 000000009A38: D3B1409C 1803391E
	v_pk_mul_f32 v[158:159], v[30:31], v[158:159]              // 000000009A40: D3B1409E 18033D1E
	v_pk_mul_f32 v[160:161], v[30:31], v[160:161]              // 000000009A48: D3B140A0 1803411E
	v_pk_mul_f32 v[162:163], v[30:31], v[162:163]              // 000000009A50: D3B140A2 1803451E
	v_pk_mul_f32 v[164:165], v[30:31], v[164:165]              // 000000009A58: D3B140A4 1803491E
	v_pk_mul_f32 v[166:167], v[30:31], v[166:167]              // 000000009A60: D3B140A6 18034D1E
	v_pk_mul_f32 v[168:169], v[30:31], v[168:169]              // 000000009A68: D3B140A8 1803511E
	v_pk_mul_f32 v[170:171], v[30:31], v[170:171]              // 000000009A70: D3B140AA 1803551E
	v_pk_mul_f32 v[172:173], v[30:31], v[172:173]              // 000000009A78: D3B140AC 1803591E
	v_pk_mul_f32 v[174:175], v[30:31], v[174:175]              // 000000009A80: D3B140AE 18035D1E
	v_pk_mul_f32 v[176:177], v[30:31], v[176:177]              // 000000009A88: D3B140B0 1803611E
	s_waitcnt lgkmcnt(4)                                       // 000000009A90: BF8CC47F
	v_mfma_f32_16x16x32_bf16 v[50:53], a[144:147], v[34:37], v[50:53]// 000000009A94: D3B50032 0CCA4590
	v_mfma_f32_16x16x32_bf16 v[54:57], a[148:151], v[34:37], v[54:57]// 000000009A9C: D3B50036 0CDA4594
	v_mfma_f32_16x16x32_bf16 v[58:61], a[152:155], v[34:37], v[58:61]// 000000009AA4: D3B5003A 0CEA4598
	v_mfma_f32_16x16x32_bf16 v[62:65], a[156:159], v[34:37], v[62:65]// 000000009AAC: D3B5003E 0CFA459C
	v_mfma_f32_16x16x32_bf16 v[66:69], a[160:163], v[34:37], v[66:69]// 000000009AB4: D3B50042 0D0A45A0
	v_mfma_f32_16x16x32_bf16 v[70:73], a[164:167], v[34:37], v[70:73]// 000000009ABC: D3B50046 0D1A45A4
	v_mfma_f32_16x16x32_bf16 v[74:77], a[168:171], v[34:37], v[74:77]// 000000009AC4: D3B5004A 0D2A45A8
	v_mfma_f32_16x16x32_bf16 v[78:81], a[172:175], v[34:37], v[78:81]// 000000009ACC: D3B5004E 0D3A45AC
	v_mfma_f32_16x16x32_bf16 v[82:85], a[176:179], v[34:37], v[82:85]// 000000009AD4: D3B50052 0D4A45B0
	v_mfma_f32_16x16x32_bf16 v[86:89], a[180:183], v[34:37], v[86:89]// 000000009ADC: D3B50056 0D5A45B4
	v_mfma_f32_16x16x32_bf16 v[90:93], a[184:187], v[34:37], v[90:93]// 000000009AE4: D3B5005A 0D6A45B8
	v_mfma_f32_16x16x32_bf16 v[94:97], a[188:191], v[34:37], v[94:97]// 000000009AEC: D3B5005E 0D7A45BC
	v_mfma_f32_16x16x32_bf16 v[98:101], a[192:195], v[34:37], v[98:101]// 000000009AF4: D3B50062 0D8A45C0
	v_mfma_f32_16x16x32_bf16 v[102:105], a[196:199], v[34:37], v[102:105]// 000000009AFC: D3B50066 0D9A45C4
	v_mfma_f32_16x16x32_bf16 v[106:109], a[200:203], v[34:37], v[106:109]// 000000009B04: D3B5006A 0DAA45C8
	v_mfma_f32_16x16x32_bf16 v[110:113], a[204:207], v[34:37], v[110:113]// 000000009B0C: D3B5006E 0DBA45CC
	ds_read_b64_tr_b16 a[144:145], v8 offset:8192              // 000000009B14: DBC62000 90000008
	ds_read_b64_tr_b16 a[146:147], v8 offset:8448              // 000000009B1C: DBC62100 92000008
	ds_read_b64_tr_b16 a[148:149], v9 offset:8192              // 000000009B24: DBC62000 94000009
	ds_read_b64_tr_b16 a[150:151], v9 offset:8448              // 000000009B2C: DBC62100 96000009
	ds_read_b64_tr_b16 a[152:153], v8 offset:9216              // 000000009B34: DBC62400 98000008
	ds_read_b64_tr_b16 a[154:155], v8 offset:9472              // 000000009B3C: DBC62500 9A000008
	ds_read_b64_tr_b16 a[156:157], v9 offset:9216              // 000000009B44: DBC62400 9C000009
	ds_read_b64_tr_b16 a[158:159], v9 offset:9472              // 000000009B4C: DBC62500 9E000009
	ds_read_b64_tr_b16 a[160:161], v8 offset:10240             // 000000009B54: DBC62800 A0000008
	ds_read_b64_tr_b16 a[162:163], v8 offset:10496             // 000000009B5C: DBC62900 A2000008
	ds_read_b64_tr_b16 a[164:165], v9 offset:10240             // 000000009B64: DBC62800 A4000009
	ds_read_b64_tr_b16 a[166:167], v9 offset:10496             // 000000009B6C: DBC62900 A6000009
	ds_read_b64_tr_b16 a[168:169], v8 offset:11264             // 000000009B74: DBC62C00 A8000008
	ds_read_b64_tr_b16 a[170:171], v8 offset:11520             // 000000009B7C: DBC62D00 AA000008
	ds_read_b64_tr_b16 a[172:173], v9 offset:11264             // 000000009B84: DBC62C00 AC000009
	ds_read_b64_tr_b16 a[174:175], v9 offset:11520             // 000000009B8C: DBC62D00 AE000009
	ds_read_b64_tr_b16 a[176:177], v8 offset:12288             // 000000009B94: DBC63000 B0000008
	ds_read_b64_tr_b16 a[178:179], v8 offset:12544             // 000000009B9C: DBC63100 B2000008
	ds_read_b64_tr_b16 a[180:181], v9 offset:12288             // 000000009BA4: DBC63000 B4000009
	ds_read_b64_tr_b16 a[182:183], v9 offset:12544             // 000000009BAC: DBC63100 B6000009
	ds_read_b64_tr_b16 a[184:185], v8 offset:13312             // 000000009BB4: DBC63400 B8000008
	ds_read_b64_tr_b16 a[186:187], v8 offset:13568             // 000000009BBC: DBC63500 BA000008
	ds_read_b64_tr_b16 a[188:189], v9 offset:13312             // 000000009BC4: DBC63400 BC000009
	ds_read_b64_tr_b16 a[190:191], v9 offset:13568             // 000000009BCC: DBC63500 BE000009
	ds_read_b64_tr_b16 a[192:193], v8 offset:14336             // 000000009BD4: DBC63800 C0000008
	ds_read_b64_tr_b16 a[194:195], v8 offset:14592             // 000000009BDC: DBC63900 C2000008
	ds_read_b64_tr_b16 a[196:197], v9 offset:14336             // 000000009BE4: DBC63800 C4000009
	ds_read_b64_tr_b16 a[198:199], v9 offset:14592             // 000000009BEC: DBC63900 C6000009
	ds_read_b64_tr_b16 a[200:201], v8 offset:15360             // 000000009BF4: DBC63C00 C8000008
	ds_read_b64_tr_b16 a[202:203], v8 offset:15616             // 000000009BFC: DBC63D00 CA000008
	ds_read_b64_tr_b16 a[204:205], v9 offset:15360             // 000000009C04: DBC63C00 CC000009
	ds_read_b64_tr_b16 a[206:207], v9 offset:15616             // 000000009C0C: DBC63D00 CE000009
	s_waitcnt vmcnt(0)                                         // 000000009C14: BF8C0F70
	s_barrier                                                  // 000000009C18: BF8A0000
	s_waitcnt lgkmcnt(0)                                       // 000000009C1C: BF8CC07F
	v_mfma_f32_16x16x32_bf16 v[114:117], a[144:147], v[34:37], v[114:117]// 000000009C20: D3B50072 0DCA4590
	ds_read_b128 a[72:75], v19                                 // 000000009C28: DBFE0000 48000013
	ds_read_b128 a[76:79], v19 offset:1024                     // 000000009C30: DBFE0400 4C000013
	v_mfma_f32_16x16x32_bf16 v[118:121], a[148:151], v[34:37], v[118:121]// 000000009C38: D3B50076 0DDA4594
	ds_read_b128 a[80:83], v19 offset:2048                     // 000000009C40: DBFE0800 50000013
	ds_read_b128 a[84:87], v19 offset:3072                     // 000000009C48: DBFE0C00 54000013
	v_mfma_f32_16x16x32_bf16 v[122:125], a[152:155], v[34:37], v[122:125]// 000000009C50: D3B5007A 0DEA4598
	ds_read_b128 a[88:91], v19 offset:4096                     // 000000009C58: DBFE1000 58000013
	ds_read_b128 a[92:95], v19 offset:5120                     // 000000009C60: DBFE1400 5C000013
	v_mfma_f32_16x16x32_bf16 v[126:129], a[156:159], v[34:37], v[126:129]// 000000009C68: D3B5007E 0DFA459C
	ds_read_b128 a[96:99], v19 offset:6144                     // 000000009C70: DBFE1800 60000013
	ds_read_b128 a[100:103], v19 offset:7168                   // 000000009C78: DBFE1C00 64000013
	v_mfma_f32_16x16x32_bf16 v[130:133], a[160:163], v[34:37], v[130:133]// 000000009C80: D3B50082 0E0A45A0
	ds_read_b128 a[104:107], v19 offset:8192                   // 000000009C88: DBFE2000 68000013
	ds_read_b128 a[108:111], v19 offset:9216                   // 000000009C90: DBFE2400 6C000013
	v_mfma_f32_16x16x32_bf16 v[134:137], a[164:167], v[34:37], v[134:137]// 000000009C98: D3B50086 0E1A45A4
	ds_read_b128 a[112:115], v19 offset:10240                  // 000000009CA0: DBFE2800 70000013
	ds_read_b128 a[116:119], v19 offset:11264                  // 000000009CA8: DBFE2C00 74000013
	v_mfma_f32_16x16x32_bf16 v[138:141], a[168:171], v[34:37], v[138:141]// 000000009CB0: D3B5008A 0E2A45A8
	ds_read_b128 a[120:123], v19 offset:12288                  // 000000009CB8: DBFE3000 78000013
	ds_read_b128 a[124:127], v19 offset:13312                  // 000000009CC0: DBFE3400 7C000013
	v_mfma_f32_16x16x32_bf16 v[142:145], a[172:175], v[34:37], v[142:145]// 000000009CC8: D3B5008E 0E3A45AC
	ds_read_b128 a[128:131], v19 offset:14336                  // 000000009CD0: DBFE3800 80000013
	ds_read_b128 a[132:135], v19 offset:15360                  // 000000009CD8: DBFE3C00 84000013
	v_mfma_f32_16x16x32_bf16 v[146:149], a[176:179], v[34:37], v[146:149]// 000000009CE0: D3B50092 0E4A45B0
	ds_read_b128 a[136:139], v19 offset:16384                  // 000000009CE8: DBFE4000 88000013
	ds_read_b128 a[140:143], v19 offset:17408                  // 000000009CF0: DBFE4400 8C000013
	v_mfma_f32_16x16x32_bf16 v[150:153], a[180:183], v[34:37], v[150:153]// 000000009CF8: D3B50096 0E5A45B4
	v_mfma_f32_16x16x32_bf16 v[154:157], a[184:187], v[34:37], v[154:157]// 000000009D00: D3B5009A 0E6A45B8
	v_mfma_f32_16x16x32_bf16 v[158:161], a[188:191], v[34:37], v[158:161]// 000000009D08: D3B5009E 0E7A45BC
	v_mfma_f32_16x16x32_bf16 v[162:165], a[192:195], v[34:37], v[162:165]// 000000009D10: D3B500A2 0E8A45C0
	v_mfma_f32_16x16x32_bf16 v[166:169], a[196:199], v[34:37], v[166:169]// 000000009D18: D3B500A6 0E9A45C4
	v_mfma_f32_16x16x32_bf16 v[170:173], a[200:203], v[34:37], v[170:173]// 000000009D20: D3B500AA 0EAA45C8
	v_mfma_f32_16x16x32_bf16 v[174:177], a[204:207], v[34:37], v[174:177]// 000000009D28: D3B500AE 0EBA45CC
	s_branch label_8C54                                        // 000000009D30: BF820508

0000000000009d34 <label_7834>:
	s_sub_u32 s56, s71, 2                                      // 000000009D34: 80B88247
	s_mul_i32 s56, s84, s56                                    // 000000009D38: 92383854
	s_add_u32 s83, s56, s83                                    // 000000009D3C: 80535338
	s_cmp_le_i32 s83, s82                                      // 000000009D40: BF055253
	s_cbranch_scc1 label_7940                                  // 000000009D44: BF85003E
	v_mov_b32_e32 v28, s82                                     // 000000009D48: 7E380252
	s_lshl_b32 s56, s2, 1                                      // 000000009D4C: 8E388102
	s_lshr_b32 s57, s7, 1                                      // 000000009D50: 8F398107
	s_add_u32 s56, s56, s57                                    // 000000009D54: 80383938
	v_add_u32_e32 v28, s56, v28                                // 000000009D58: 68383838
	s_sub_u32 s56, s83, 31                                     // 000000009D5C: 80B89F53
	v_lshrrev_b32_e32 v18, 4, v0                               // 000000009D60: 20240084
	v_mul_i32_i24_e32 v18, 4, v18                              // 000000009D64: 0C242484
	v_add_u32_e32 v18, s56, v18                                // 000000009D68: 68242438
	v_add_u32_e32 v19, 1, v18                                  // 000000009D6C: 68262481
	v_add_u32_e32 v20, 2, v18                                  // 000000009D70: 68282482
	v_add_u32_e32 v21, 3, v18                                  // 000000009D74: 682A2483
	v_mov_b32_e32 v29, 0xff800000                              // 000000009D78: 7E3A02FF FF800000
	v_cmp_le_u32_e64 s[36:37], v18, v28                        // 000000009D80: D0CB0024 00023912
	v_add_u32_e32 v18, 16, v18                                 // 000000009D88: 68242490
	s_nop 0                                                    // 000000009D8C: BF800000
	v_cndmask_b32_e64 v42, v29, v42, s[36:37]                  // 000000009D90: D100002A 0092551D
	v_cmp_le_u32_e64 s[36:37], v19, v28                        // 000000009D98: D0CB0024 00023913
	v_add_u32_e32 v19, 16, v19                                 // 000000009DA0: 68262690
	s_nop 0                                                    // 000000009DA4: BF800000
	v_cndmask_b32_e64 v43, v29, v43, s[36:37]                  // 000000009DA8: D100002B 0092571D
	v_cmp_le_u32_e64 s[36:37], v20, v28                        // 000000009DB0: D0CB0024 00023914
	v_add_u32_e32 v20, 16, v20                                 // 000000009DB8: 68282890
	s_nop 0                                                    // 000000009DBC: BF800000
	v_cndmask_b32_e64 v44, v29, v44, s[36:37]                  // 000000009DC0: D100002C 0092591D
	v_cmp_le_u32_e64 s[36:37], v21, v28                        // 000000009DC8: D0CB0024 00023915
	v_add_u32_e32 v21, 16, v21                                 // 000000009DD0: 682A2A90
	s_nop 0                                                    // 000000009DD4: BF800000
	v_cndmask_b32_e64 v45, v29, v45, s[36:37]                  // 000000009DD8: D100002D 00925B1D
	v_cmp_le_u32_e64 s[36:37], v18, v28                        // 000000009DE0: D0CB0024 00023912
	v_add_u32_e32 v18, 16, v18                                 // 000000009DE8: 68242490
	s_nop 0                                                    // 000000009DEC: BF800000
	v_cndmask_b32_e64 v46, v29, v46, s[36:37]                  // 000000009DF0: D100002E 00925D1D
	v_cmp_le_u32_e64 s[36:37], v19, v28                        // 000000009DF8: D0CB0024 00023913
	v_add_u32_e32 v19, 16, v19                                 // 000000009E00: 68262690
	s_nop 0                                                    // 000000009E04: BF800000
	v_cndmask_b32_e64 v47, v29, v47, s[36:37]                  // 000000009E08: D100002F 00925F1D
	v_cmp_le_u32_e64 s[36:37], v20, v28                        // 000000009E10: D0CB0024 00023914
	v_add_u32_e32 v20, 16, v20                                 // 000000009E18: 68282890
	s_nop 0                                                    // 000000009E1C: BF800000
	v_cndmask_b32_e64 v48, v29, v48, s[36:37]                  // 000000009E20: D1000030 0092611D
	v_cmp_le_u32_e64 s[36:37], v21, v28                        // 000000009E28: D0CB0024 00023915
	v_add_u32_e32 v21, 16, v21                                 // 000000009E30: 682A2A90
	s_nop 0                                                    // 000000009E34: BF800000
	v_cndmask_b32_e64 v49, v29, v49, s[36:37]                  // 000000009E38: D1000031 0092631D

0000000000009e40 <label_7940>:
	s_add_u32 s83, s84, s83                                    // 000000009E40: 80535354
	s_nop 2                                                    // 000000009E44: BF800002
	v_mov_b32_e32 v29, v42                                     // 000000009E48: 7E3A032A
	v_max3_f32 v29, v42, v43, v29                              // 000000009E4C: D1D3001D 0476572A
	v_max3_f32 v29, v44, v45, v29                              // 000000009E54: D1D3001D 04765B2C
	v_max3_f32 v29, v46, v47, v29                              // 000000009E5C: D1D3001D 04765F2E
	v_max3_f32 v29, v48, v49, v29                              // 000000009E64: D1D3001D 04766330
	v_mov_b32_e32 v28, v29                                     // 000000009E6C: 7E38031D
	v_mov_b32_e32 v29, v29                                     // 000000009E70: 7E3A031D
	s_nop 1                                                    // 000000009E74: BF800001
	v_permlane16_swap_b32_e32 v28, v29                         // 000000009E78: 7E38B31D
	v_mov_b32_e32 v31, v28                                     // 000000009E7C: 7E3E031C
	v_mov_b32_e32 v30, v29                                     // 000000009E80: 7E3C031D
	s_nop 1                                                    // 000000009E84: BF800001
	v_permlane32_swap_b32_e32 v28, v29                         // 000000009E88: 7E38B51D
	v_permlane32_swap_b32_e32 v30, v31                         // 000000009E8C: 7E3CB51F
	v_max3_f32 v29, v28, v29, v29                              // 000000009E90: D1D3001D 04763B1C
	v_max3_f32 v29, v30, v31, v29                              // 000000009E98: D1D3001D 04763F1E
	v_mov_b32_e32 v28, 0xff800000                              // 000000009EA0: 7E3802FF FF800000
	v_cmp_eq_u32_e64 s[36:37], v28, v2                         // 000000009EA8: D0CA0024 0002051C
	v_max_f32_e32 v29, v29, v2                                 // 000000009EB0: 163A051D
	v_sub_f32_e32 v16, v2, v29                                 // 000000009EB4: 04203B02
	v_cndmask_b32_e64 v16, v16, 0, s[36:37]                    // 000000009EB8: D1000010 00910110
	v_mov_b32_e32 v2, v29                                      // 000000009EC0: 7E04031D
	v_mul_f32_e32 v29, s5, v29                                 // 000000009EC4: 0A3A3A05
	v_mul_f32_e32 v16, s5, v16                                 // 000000009EC8: 0A202005
	v_exp_f32_e32 v16, v16                                     // 000000009ECC: 7E204110
	v_fma_f32 v42, v42, s5, -v29                               // 000000009ED0: D1CB002A 84740B2A
	v_fma_f32 v43, v43, s5, -v29                               // 000000009ED8: D1CB002B 84740B2B
	v_fma_f32 v44, v44, s5, -v29                               // 000000009EE0: D1CB002C 84740B2C
	v_fma_f32 v45, v45, s5, -v29                               // 000000009EE8: D1CB002D 84740B2D
	v_fma_f32 v46, v46, s5, -v29                               // 000000009EF0: D1CB002E 84740B2E
	v_fma_f32 v47, v47, s5, -v29                               // 000000009EF8: D1CB002F 84740B2F
	v_fma_f32 v48, v48, s5, -v29                               // 000000009F00: D1CB0030 84740B30
	v_fma_f32 v49, v49, s5, -v29                               // 000000009F08: D1CB0031 84740B31
	v_exp_f32_e32 v42, v42                                     // 000000009F10: 7E54412A
	v_exp_f32_e32 v43, v43                                     // 000000009F14: 7E56412B
	v_exp_f32_e32 v44, v44                                     // 000000009F18: 7E58412C
	v_exp_f32_e32 v45, v45                                     // 000000009F1C: 7E5A412D
	v_exp_f32_e32 v46, v46                                     // 000000009F20: 7E5C412E
	v_exp_f32_e32 v47, v47                                     // 000000009F24: 7E5E412F
	v_exp_f32_e32 v48, v48                                     // 000000009F28: 7E604130
	v_exp_f32_e32 v49, v49                                     // 000000009F2C: 7E624131
	v_mul_f32_e32 v4, v16, v4                                  // 000000009F30: 0A080910
	v_mov_b32_e32 v28, v42                                     // 000000009F34: 7E38032A
	v_add_f32_e32 v28, v43, v28                                // 000000009F38: 0238392B
	v_add_f32_e32 v28, v44, v28                                // 000000009F3C: 0238392C
	v_add_f32_e32 v28, v45, v28                                // 000000009F40: 0238392D
	v_add_f32_e32 v28, v46, v28                                // 000000009F44: 0238392E
	v_add_f32_e32 v28, v47, v28                                // 000000009F48: 0238392F
	v_add_f32_e32 v28, v48, v28                                // 000000009F4C: 02383930
	v_add_f32_e32 v28, v49, v28                                // 000000009F50: 02383931
	v_add_f32_e32 v4, v28, v4                                  // 000000009F54: 0208091C
	v_cvt_pk_bf16_f32 v42, v42, v43                            // 000000009F58: D268002A 0002572A
	v_cvt_pk_bf16_f32 v43, v44, v45                            // 000000009F60: D268002B 00025B2C
	v_cvt_pk_bf16_f32 v44, v46, v47                            // 000000009F68: D268002C 00025F2E
	v_cvt_pk_bf16_f32 v45, v48, v49                            // 000000009F70: D268002D 00026330
	s_nop 0                                                    // 000000009F78: BF800000
	v_permlane32_swap_b32_e32 v42, v44                         // 000000009F7C: 7E54B52C
	v_permlane32_swap_b32_e32 v43, v45                         // 000000009F80: 7E56B52D
	s_nop 0                                                    // 000000009F84: BF800000
	v_permlane16_swap_b32_e32 v42, v44                         // 000000009F88: 7E54B32C
	v_permlane16_swap_b32_e32 v43, v45                         // 000000009F8C: 7E56B32D
	s_waitcnt lgkmcnt(4)                                       // 000000009F90: BF8CC47F
	v_mfma_f32_16x16x32_bf16 v[50:53], a[144:147], v[34:37], v[50:53]// 000000009F94: D3B50032 0CCA4590
	v_mfma_f32_16x16x32_bf16 v[54:57], a[148:151], v[34:37], v[54:57]// 000000009F9C: D3B50036 0CDA4594
	v_mfma_f32_16x16x32_bf16 v[58:61], a[152:155], v[34:37], v[58:61]// 000000009FA4: D3B5003A 0CEA4598
	v_mfma_f32_16x16x32_bf16 v[62:65], a[156:159], v[34:37], v[62:65]// 000000009FAC: D3B5003E 0CFA459C
	v_mfma_f32_16x16x32_bf16 v[66:69], a[160:163], v[34:37], v[66:69]// 000000009FB4: D3B50042 0D0A45A0
	v_mfma_f32_16x16x32_bf16 v[70:73], a[164:167], v[34:37], v[70:73]// 000000009FBC: D3B50046 0D1A45A4
	v_mfma_f32_16x16x32_bf16 v[74:77], a[168:171], v[34:37], v[74:77]// 000000009FC4: D3B5004A 0D2A45A8
	v_mfma_f32_16x16x32_bf16 v[78:81], a[172:175], v[34:37], v[78:81]// 000000009FCC: D3B5004E 0D3A45AC
	v_mfma_f32_16x16x32_bf16 v[82:85], a[176:179], v[34:37], v[82:85]// 000000009FD4: D3B50052 0D4A45B0
	v_mfma_f32_16x16x32_bf16 v[86:89], a[180:183], v[34:37], v[86:89]// 000000009FDC: D3B50056 0D5A45B4
	v_mfma_f32_16x16x32_bf16 v[90:93], a[184:187], v[34:37], v[90:93]// 000000009FE4: D3B5005A 0D6A45B8
	v_mfma_f32_16x16x32_bf16 v[94:97], a[188:191], v[34:37], v[94:97]// 000000009FEC: D3B5005E 0D7A45BC
	v_mfma_f32_16x16x32_bf16 v[98:101], a[192:195], v[34:37], v[98:101]// 000000009FF4: D3B50062 0D8A45C0
	v_mfma_f32_16x16x32_bf16 v[102:105], a[196:199], v[34:37], v[102:105]// 000000009FFC: D3B50066 0D9A45C4
	v_mfma_f32_16x16x32_bf16 v[106:109], a[200:203], v[34:37], v[106:109]// 00000000A004: D3B5006A 0DAA45C8
	v_mfma_f32_16x16x32_bf16 v[110:113], a[204:207], v[34:37], v[110:113]// 00000000A00C: D3B5006E 0DBA45CC
	ds_read_b64_tr_b16 a[144:145], v8 offset:8192              // 00000000A014: DBC62000 90000008
	ds_read_b64_tr_b16 a[146:147], v8 offset:8448              // 00000000A01C: DBC62100 92000008
	ds_read_b64_tr_b16 a[148:149], v9 offset:8192              // 00000000A024: DBC62000 94000009
	ds_read_b64_tr_b16 a[150:151], v9 offset:8448              // 00000000A02C: DBC62100 96000009
	ds_read_b64_tr_b16 a[152:153], v8 offset:9216              // 00000000A034: DBC62400 98000008
	ds_read_b64_tr_b16 a[154:155], v8 offset:9472              // 00000000A03C: DBC62500 9A000008
	ds_read_b64_tr_b16 a[156:157], v9 offset:9216              // 00000000A044: DBC62400 9C000009
	ds_read_b64_tr_b16 a[158:159], v9 offset:9472              // 00000000A04C: DBC62500 9E000009
	ds_read_b64_tr_b16 a[160:161], v8 offset:10240             // 00000000A054: DBC62800 A0000008
	ds_read_b64_tr_b16 a[162:163], v8 offset:10496             // 00000000A05C: DBC62900 A2000008
	ds_read_b64_tr_b16 a[164:165], v9 offset:10240             // 00000000A064: DBC62800 A4000009
	ds_read_b64_tr_b16 a[166:167], v9 offset:10496             // 00000000A06C: DBC62900 A6000009
	ds_read_b64_tr_b16 a[168:169], v8 offset:11264             // 00000000A074: DBC62C00 A8000008
	ds_read_b64_tr_b16 a[170:171], v8 offset:11520             // 00000000A07C: DBC62D00 AA000008
	ds_read_b64_tr_b16 a[172:173], v9 offset:11264             // 00000000A084: DBC62C00 AC000009
	ds_read_b64_tr_b16 a[174:175], v9 offset:11520             // 00000000A08C: DBC62D00 AE000009
	ds_read_b64_tr_b16 a[176:177], v8 offset:12288             // 00000000A094: DBC63000 B0000008
	ds_read_b64_tr_b16 a[178:179], v8 offset:12544             // 00000000A09C: DBC63100 B2000008
	ds_read_b64_tr_b16 a[180:181], v9 offset:12288             // 00000000A0A4: DBC63000 B4000009
	ds_read_b64_tr_b16 a[182:183], v9 offset:12544             // 00000000A0AC: DBC63100 B6000009
	ds_read_b64_tr_b16 a[184:185], v8 offset:13312             // 00000000A0B4: DBC63400 B8000008
	ds_read_b64_tr_b16 a[186:187], v8 offset:13568             // 00000000A0BC: DBC63500 BA000008
	ds_read_b64_tr_b16 a[188:189], v9 offset:13312             // 00000000A0C4: DBC63400 BC000009
	ds_read_b64_tr_b16 a[190:191], v9 offset:13568             // 00000000A0CC: DBC63500 BE000009
	ds_read_b64_tr_b16 a[192:193], v8 offset:14336             // 00000000A0D4: DBC63800 C0000008
	ds_read_b64_tr_b16 a[194:195], v8 offset:14592             // 00000000A0DC: DBC63900 C2000008
	ds_read_b64_tr_b16 a[196:197], v9 offset:14336             // 00000000A0E4: DBC63800 C4000009
	ds_read_b64_tr_b16 a[198:199], v9 offset:14592             // 00000000A0EC: DBC63900 C6000009
	ds_read_b64_tr_b16 a[200:201], v8 offset:15360             // 00000000A0F4: DBC63C00 C8000008
	ds_read_b64_tr_b16 a[202:203], v8 offset:15616             // 00000000A0FC: DBC63D00 CA000008
	ds_read_b64_tr_b16 a[204:205], v9 offset:15360             // 00000000A104: DBC63C00 CC000009
	ds_read_b64_tr_b16 a[206:207], v9 offset:15616             // 00000000A10C: DBC63D00 CE000009
	s_waitcnt lgkmcnt(0)                                       // 00000000A114: BF8CC07F
	v_mfma_f32_16x16x32_bf16 v[114:117], a[144:147], v[34:37], v[114:117]// 00000000A118: D3B50072 0DCA4590
	v_mfma_f32_16x16x32_bf16 v[118:121], a[148:151], v[34:37], v[118:121]// 00000000A120: D3B50076 0DDA4594
	v_mfma_f32_16x16x32_bf16 v[122:125], a[152:155], v[34:37], v[122:125]// 00000000A128: D3B5007A 0DEA4598
	v_mfma_f32_16x16x32_bf16 v[126:129], a[156:159], v[34:37], v[126:129]// 00000000A130: D3B5007E 0DFA459C
	v_mfma_f32_16x16x32_bf16 v[130:133], a[160:163], v[34:37], v[130:133]// 00000000A138: D3B50082 0E0A45A0
	v_mfma_f32_16x16x32_bf16 v[134:137], a[164:167], v[34:37], v[134:137]// 00000000A140: D3B50086 0E1A45A4
	v_mfma_f32_16x16x32_bf16 v[138:141], a[168:171], v[34:37], v[138:141]// 00000000A148: D3B5008A 0E2A45A8
	v_mfma_f32_16x16x32_bf16 v[142:145], a[172:175], v[34:37], v[142:145]// 00000000A150: D3B5008E 0E3A45AC
	v_mfma_f32_16x16x32_bf16 v[146:149], a[176:179], v[34:37], v[146:149]// 00000000A158: D3B50092 0E4A45B0
	v_mfma_f32_16x16x32_bf16 v[150:153], a[180:183], v[34:37], v[150:153]// 00000000A160: D3B50096 0E5A45B4
	v_mfma_f32_16x16x32_bf16 v[154:157], a[184:187], v[34:37], v[154:157]// 00000000A168: D3B5009A 0E6A45B8
	v_mfma_f32_16x16x32_bf16 v[158:161], a[188:191], v[34:37], v[158:161]// 00000000A170: D3B5009E 0E7A45BC
	v_mfma_f32_16x16x32_bf16 v[162:165], a[192:195], v[34:37], v[162:165]// 00000000A178: D3B500A2 0E8A45C0
	v_mfma_f32_16x16x32_bf16 v[166:169], a[196:199], v[34:37], v[166:169]// 00000000A180: D3B500A6 0E9A45C4
	v_mfma_f32_16x16x32_bf16 v[170:173], a[200:203], v[34:37], v[170:173]// 00000000A188: D3B500AA 0EAA45C8
	v_mfma_f32_16x16x32_bf16 v[174:177], a[204:207], v[34:37], v[174:177]// 00000000A190: D3B500AE 0EBA45CC
	ds_read_b64_tr_b16 a[144:145], v10                         // 00000000A198: DBC60000 9000000A
	ds_read_b64_tr_b16 a[146:147], v10 offset:256              // 00000000A1A0: DBC60100 9200000A
	ds_read_b64_tr_b16 a[148:149], v11                         // 00000000A1A8: DBC60000 9400000B
	ds_read_b64_tr_b16 a[150:151], v11 offset:256              // 00000000A1B0: DBC60100 9600000B
	ds_read_b64_tr_b16 a[152:153], v10 offset:1024             // 00000000A1B8: DBC60400 9800000A
	ds_read_b64_tr_b16 a[154:155], v10 offset:1280             // 00000000A1C0: DBC60500 9A00000A
	ds_read_b64_tr_b16 a[156:157], v11 offset:1024             // 00000000A1C8: DBC60400 9C00000B
	ds_read_b64_tr_b16 a[158:159], v11 offset:1280             // 00000000A1D0: DBC60500 9E00000B
	ds_read_b64_tr_b16 a[160:161], v10 offset:2048             // 00000000A1D8: DBC60800 A000000A
	ds_read_b64_tr_b16 a[162:163], v10 offset:2304             // 00000000A1E0: DBC60900 A200000A
	ds_read_b64_tr_b16 a[164:165], v11 offset:2048             // 00000000A1E8: DBC60800 A400000B
	ds_read_b64_tr_b16 a[166:167], v11 offset:2304             // 00000000A1F0: DBC60900 A600000B
	ds_read_b64_tr_b16 a[168:169], v10 offset:3072             // 00000000A1F8: DBC60C00 A800000A
	ds_read_b64_tr_b16 a[170:171], v10 offset:3328             // 00000000A200: DBC60D00 AA00000A
	ds_read_b64_tr_b16 a[172:173], v11 offset:3072             // 00000000A208: DBC60C00 AC00000B
	ds_read_b64_tr_b16 a[174:175], v11 offset:3328             // 00000000A210: DBC60D00 AE00000B
	ds_read_b64_tr_b16 a[176:177], v10 offset:4096             // 00000000A218: DBC61000 B000000A
	ds_read_b64_tr_b16 a[178:179], v10 offset:4352             // 00000000A220: DBC61100 B200000A
	ds_read_b64_tr_b16 a[180:181], v11 offset:4096             // 00000000A228: DBC61000 B400000B
	ds_read_b64_tr_b16 a[182:183], v11 offset:4352             // 00000000A230: DBC61100 B600000B
	ds_read_b64_tr_b16 a[184:185], v10 offset:5120             // 00000000A238: DBC61400 B800000A
	ds_read_b64_tr_b16 a[186:187], v10 offset:5376             // 00000000A240: DBC61500 BA00000A
	ds_read_b64_tr_b16 a[188:189], v11 offset:5120             // 00000000A248: DBC61400 BC00000B
	ds_read_b64_tr_b16 a[190:191], v11 offset:5376             // 00000000A250: DBC61500 BE00000B
	ds_read_b64_tr_b16 a[192:193], v10 offset:6144             // 00000000A258: DBC61800 C000000A
	ds_read_b64_tr_b16 a[194:195], v10 offset:6400             // 00000000A260: DBC61900 C200000A
	ds_read_b64_tr_b16 a[196:197], v11 offset:6144             // 00000000A268: DBC61800 C400000B
	ds_read_b64_tr_b16 a[198:199], v11 offset:6400             // 00000000A270: DBC61900 C600000B
	ds_read_b64_tr_b16 a[200:201], v10 offset:7168             // 00000000A278: DBC61C00 C800000A
	ds_read_b64_tr_b16 a[202:203], v10 offset:7424             // 00000000A280: DBC61D00 CA00000A
	ds_read_b64_tr_b16 a[204:205], v11 offset:7168             // 00000000A288: DBC61C00 CC00000B
	ds_read_b64_tr_b16 a[206:207], v11 offset:7424             // 00000000A290: DBC61D00 CE00000B
	v_mov_b32_e32 v30, v16                                     // 00000000A298: 7E3C0310
	v_mov_b32_e32 v31, v16                                     // 00000000A29C: 7E3E0310
	v_pk_mul_f32 v[50:51], v[30:31], v[50:51]                  // 00000000A2A0: D3B14032 1802651E
	v_pk_mul_f32 v[52:53], v[30:31], v[52:53]                  // 00000000A2A8: D3B14034 1802691E
	v_pk_mul_f32 v[54:55], v[30:31], v[54:55]                  // 00000000A2B0: D3B14036 18026D1E
	v_pk_mul_f32 v[56:57], v[30:31], v[56:57]                  // 00000000A2B8: D3B14038 1802711E
	v_pk_mul_f32 v[58:59], v[30:31], v[58:59]                  // 00000000A2C0: D3B1403A 1802751E
	v_pk_mul_f32 v[60:61], v[30:31], v[60:61]                  // 00000000A2C8: D3B1403C 1802791E
	v_pk_mul_f32 v[62:63], v[30:31], v[62:63]                  // 00000000A2D0: D3B1403E 18027D1E
	v_pk_mul_f32 v[64:65], v[30:31], v[64:65]                  // 00000000A2D8: D3B14040 1802811E
	v_pk_mul_f32 v[66:67], v[30:31], v[66:67]                  // 00000000A2E0: D3B14042 1802851E
	v_pk_mul_f32 v[68:69], v[30:31], v[68:69]                  // 00000000A2E8: D3B14044 1802891E
	v_pk_mul_f32 v[70:71], v[30:31], v[70:71]                  // 00000000A2F0: D3B14046 18028D1E
	v_pk_mul_f32 v[72:73], v[30:31], v[72:73]                  // 00000000A2F8: D3B14048 1802911E
	v_pk_mul_f32 v[74:75], v[30:31], v[74:75]                  // 00000000A300: D3B1404A 1802951E
	v_pk_mul_f32 v[76:77], v[30:31], v[76:77]                  // 00000000A308: D3B1404C 1802991E
	v_pk_mul_f32 v[78:79], v[30:31], v[78:79]                  // 00000000A310: D3B1404E 18029D1E
	v_pk_mul_f32 v[80:81], v[30:31], v[80:81]                  // 00000000A318: D3B14050 1802A11E
	v_pk_mul_f32 v[82:83], v[30:31], v[82:83]                  // 00000000A320: D3B14052 1802A51E
	v_pk_mul_f32 v[84:85], v[30:31], v[84:85]                  // 00000000A328: D3B14054 1802A91E
	v_pk_mul_f32 v[86:87], v[30:31], v[86:87]                  // 00000000A330: D3B14056 1802AD1E
	v_pk_mul_f32 v[88:89], v[30:31], v[88:89]                  // 00000000A338: D3B14058 1802B11E
	v_pk_mul_f32 v[90:91], v[30:31], v[90:91]                  // 00000000A340: D3B1405A 1802B51E
	v_pk_mul_f32 v[92:93], v[30:31], v[92:93]                  // 00000000A348: D3B1405C 1802B91E
	v_pk_mul_f32 v[94:95], v[30:31], v[94:95]                  // 00000000A350: D3B1405E 1802BD1E
	v_pk_mul_f32 v[96:97], v[30:31], v[96:97]                  // 00000000A358: D3B14060 1802C11E
	v_pk_mul_f32 v[98:99], v[30:31], v[98:99]                  // 00000000A360: D3B14062 1802C51E
	v_pk_mul_f32 v[100:101], v[30:31], v[100:101]              // 00000000A368: D3B14064 1802C91E
	v_pk_mul_f32 v[102:103], v[30:31], v[102:103]              // 00000000A370: D3B14066 1802CD1E
	v_pk_mul_f32 v[104:105], v[30:31], v[104:105]              // 00000000A378: D3B14068 1802D11E
	v_pk_mul_f32 v[106:107], v[30:31], v[106:107]              // 00000000A380: D3B1406A 1802D51E
	v_pk_mul_f32 v[108:109], v[30:31], v[108:109]              // 00000000A388: D3B1406C 1802D91E
	v_pk_mul_f32 v[110:111], v[30:31], v[110:111]              // 00000000A390: D3B1406E 1802DD1E
	v_pk_mul_f32 v[112:113], v[30:31], v[112:113]              // 00000000A398: D3B14070 1802E11E
	v_pk_mul_f32 v[114:115], v[30:31], v[114:115]              // 00000000A3A0: D3B14072 1802E51E
	v_pk_mul_f32 v[116:117], v[30:31], v[116:117]              // 00000000A3A8: D3B14074 1802E91E
	v_pk_mul_f32 v[118:119], v[30:31], v[118:119]              // 00000000A3B0: D3B14076 1802ED1E
	v_pk_mul_f32 v[120:121], v[30:31], v[120:121]              // 00000000A3B8: D3B14078 1802F11E
	v_pk_mul_f32 v[122:123], v[30:31], v[122:123]              // 00000000A3C0: D3B1407A 1802F51E
	v_pk_mul_f32 v[124:125], v[30:31], v[124:125]              // 00000000A3C8: D3B1407C 1802F91E
	v_pk_mul_f32 v[126:127], v[30:31], v[126:127]              // 00000000A3D0: D3B1407E 1802FD1E
	v_pk_mul_f32 v[128:129], v[30:31], v[128:129]              // 00000000A3D8: D3B14080 1803011E
	v_pk_mul_f32 v[130:131], v[30:31], v[130:131]              // 00000000A3E0: D3B14082 1803051E
	v_pk_mul_f32 v[132:133], v[30:31], v[132:133]              // 00000000A3E8: D3B14084 1803091E
	v_pk_mul_f32 v[134:135], v[30:31], v[134:135]              // 00000000A3F0: D3B14086 18030D1E
	v_pk_mul_f32 v[136:137], v[30:31], v[136:137]              // 00000000A3F8: D3B14088 1803111E
	v_pk_mul_f32 v[138:139], v[30:31], v[138:139]              // 00000000A400: D3B1408A 1803151E
	v_pk_mul_f32 v[140:141], v[30:31], v[140:141]              // 00000000A408: D3B1408C 1803191E
	v_pk_mul_f32 v[142:143], v[30:31], v[142:143]              // 00000000A410: D3B1408E 18031D1E
	v_pk_mul_f32 v[144:145], v[30:31], v[144:145]              // 00000000A418: D3B14090 1803211E
	v_pk_mul_f32 v[146:147], v[30:31], v[146:147]              // 00000000A420: D3B14092 1803251E
	v_pk_mul_f32 v[148:149], v[30:31], v[148:149]              // 00000000A428: D3B14094 1803291E
	v_pk_mul_f32 v[150:151], v[30:31], v[150:151]              // 00000000A430: D3B14096 18032D1E
	v_pk_mul_f32 v[152:153], v[30:31], v[152:153]              // 00000000A438: D3B14098 1803311E
	v_pk_mul_f32 v[154:155], v[30:31], v[154:155]              // 00000000A440: D3B1409A 1803351E
	v_pk_mul_f32 v[156:157], v[30:31], v[156:157]              // 00000000A448: D3B1409C 1803391E
	v_pk_mul_f32 v[158:159], v[30:31], v[158:159]              // 00000000A450: D3B1409E 18033D1E
	v_pk_mul_f32 v[160:161], v[30:31], v[160:161]              // 00000000A458: D3B140A0 1803411E
	v_pk_mul_f32 v[162:163], v[30:31], v[162:163]              // 00000000A460: D3B140A2 1803451E
	v_pk_mul_f32 v[164:165], v[30:31], v[164:165]              // 00000000A468: D3B140A4 1803491E
	v_pk_mul_f32 v[166:167], v[30:31], v[166:167]              // 00000000A470: D3B140A6 18034D1E
	v_pk_mul_f32 v[168:169], v[30:31], v[168:169]              // 00000000A478: D3B140A8 1803511E
	v_pk_mul_f32 v[170:171], v[30:31], v[170:171]              // 00000000A480: D3B140AA 1803551E
	v_pk_mul_f32 v[172:173], v[30:31], v[172:173]              // 00000000A488: D3B140AC 1803591E
	v_pk_mul_f32 v[174:175], v[30:31], v[174:175]              // 00000000A490: D3B140AE 18035D1E
	v_pk_mul_f32 v[176:177], v[30:31], v[176:177]              // 00000000A498: D3B140B0 1803611E
	s_waitcnt lgkmcnt(4)                                       // 00000000A4A0: BF8CC47F
	v_mfma_f32_16x16x32_bf16 v[50:53], a[144:147], v[42:45], v[50:53]// 00000000A4A4: D3B50032 0CCA5590
	v_mfma_f32_16x16x32_bf16 v[54:57], a[148:151], v[42:45], v[54:57]// 00000000A4AC: D3B50036 0CDA5594
	v_mfma_f32_16x16x32_bf16 v[58:61], a[152:155], v[42:45], v[58:61]// 00000000A4B4: D3B5003A 0CEA5598
	v_mfma_f32_16x16x32_bf16 v[62:65], a[156:159], v[42:45], v[62:65]// 00000000A4BC: D3B5003E 0CFA559C
	v_mfma_f32_16x16x32_bf16 v[66:69], a[160:163], v[42:45], v[66:69]// 00000000A4C4: D3B50042 0D0A55A0
	v_mfma_f32_16x16x32_bf16 v[70:73], a[164:167], v[42:45], v[70:73]// 00000000A4CC: D3B50046 0D1A55A4
	v_mfma_f32_16x16x32_bf16 v[74:77], a[168:171], v[42:45], v[74:77]// 00000000A4D4: D3B5004A 0D2A55A8
	v_mfma_f32_16x16x32_bf16 v[78:81], a[172:175], v[42:45], v[78:81]// 00000000A4DC: D3B5004E 0D3A55AC
	v_mfma_f32_16x16x32_bf16 v[82:85], a[176:179], v[42:45], v[82:85]// 00000000A4E4: D3B50052 0D4A55B0
	v_mfma_f32_16x16x32_bf16 v[86:89], a[180:183], v[42:45], v[86:89]// 00000000A4EC: D3B50056 0D5A55B4
	v_mfma_f32_16x16x32_bf16 v[90:93], a[184:187], v[42:45], v[90:93]// 00000000A4F4: D3B5005A 0D6A55B8
	v_mfma_f32_16x16x32_bf16 v[94:97], a[188:191], v[42:45], v[94:97]// 00000000A4FC: D3B5005E 0D7A55BC
	v_mfma_f32_16x16x32_bf16 v[98:101], a[192:195], v[42:45], v[98:101]// 00000000A504: D3B50062 0D8A55C0
	v_mfma_f32_16x16x32_bf16 v[102:105], a[196:199], v[42:45], v[102:105]// 00000000A50C: D3B50066 0D9A55C4
	v_mfma_f32_16x16x32_bf16 v[106:109], a[200:203], v[42:45], v[106:109]// 00000000A514: D3B5006A 0DAA55C8
	v_mfma_f32_16x16x32_bf16 v[110:113], a[204:207], v[42:45], v[110:113]// 00000000A51C: D3B5006E 0DBA55CC
	ds_read_b64_tr_b16 a[144:145], v10 offset:8192             // 00000000A524: DBC62000 9000000A
	ds_read_b64_tr_b16 a[146:147], v10 offset:8448             // 00000000A52C: DBC62100 9200000A
	ds_read_b64_tr_b16 a[148:149], v11 offset:8192             // 00000000A534: DBC62000 9400000B
	ds_read_b64_tr_b16 a[150:151], v11 offset:8448             // 00000000A53C: DBC62100 9600000B
	ds_read_b64_tr_b16 a[152:153], v10 offset:9216             // 00000000A544: DBC62400 9800000A
	ds_read_b64_tr_b16 a[154:155], v10 offset:9472             // 00000000A54C: DBC62500 9A00000A
	ds_read_b64_tr_b16 a[156:157], v11 offset:9216             // 00000000A554: DBC62400 9C00000B
	ds_read_b64_tr_b16 a[158:159], v11 offset:9472             // 00000000A55C: DBC62500 9E00000B
	ds_read_b64_tr_b16 a[160:161], v10 offset:10240            // 00000000A564: DBC62800 A000000A
	ds_read_b64_tr_b16 a[162:163], v10 offset:10496            // 00000000A56C: DBC62900 A200000A
	ds_read_b64_tr_b16 a[164:165], v11 offset:10240            // 00000000A574: DBC62800 A400000B
	ds_read_b64_tr_b16 a[166:167], v11 offset:10496            // 00000000A57C: DBC62900 A600000B
	ds_read_b64_tr_b16 a[168:169], v10 offset:11264            // 00000000A584: DBC62C00 A800000A
	ds_read_b64_tr_b16 a[170:171], v10 offset:11520            // 00000000A58C: DBC62D00 AA00000A
	ds_read_b64_tr_b16 a[172:173], v11 offset:11264            // 00000000A594: DBC62C00 AC00000B
	ds_read_b64_tr_b16 a[174:175], v11 offset:11520            // 00000000A59C: DBC62D00 AE00000B
	ds_read_b64_tr_b16 a[176:177], v10 offset:12288            // 00000000A5A4: DBC63000 B000000A
	ds_read_b64_tr_b16 a[178:179], v10 offset:12544            // 00000000A5AC: DBC63100 B200000A
	ds_read_b64_tr_b16 a[180:181], v11 offset:12288            // 00000000A5B4: DBC63000 B400000B
	ds_read_b64_tr_b16 a[182:183], v11 offset:12544            // 00000000A5BC: DBC63100 B600000B
	ds_read_b64_tr_b16 a[184:185], v10 offset:13312            // 00000000A5C4: DBC63400 B800000A
	ds_read_b64_tr_b16 a[186:187], v10 offset:13568            // 00000000A5CC: DBC63500 BA00000A
	ds_read_b64_tr_b16 a[188:189], v11 offset:13312            // 00000000A5D4: DBC63400 BC00000B
	ds_read_b64_tr_b16 a[190:191], v11 offset:13568            // 00000000A5DC: DBC63500 BE00000B
	ds_read_b64_tr_b16 a[192:193], v10 offset:14336            // 00000000A5E4: DBC63800 C000000A
	ds_read_b64_tr_b16 a[194:195], v10 offset:14592            // 00000000A5EC: DBC63900 C200000A
	ds_read_b64_tr_b16 a[196:197], v11 offset:14336            // 00000000A5F4: DBC63800 C400000B
	ds_read_b64_tr_b16 a[198:199], v11 offset:14592            // 00000000A5FC: DBC63900 C600000B
	ds_read_b64_tr_b16 a[200:201], v10 offset:15360            // 00000000A604: DBC63C00 C800000A
	ds_read_b64_tr_b16 a[202:203], v10 offset:15616            // 00000000A60C: DBC63D00 CA00000A
	ds_read_b64_tr_b16 a[204:205], v11 offset:15360            // 00000000A614: DBC63C00 CC00000B
	ds_read_b64_tr_b16 a[206:207], v11 offset:15616            // 00000000A61C: DBC63D00 CE00000B
	s_waitcnt vmcnt(0)                                         // 00000000A624: BF8C0F70
	s_barrier                                                  // 00000000A628: BF8A0000
	s_waitcnt lgkmcnt(0)                                       // 00000000A62C: BF8CC07F
	v_mfma_f32_16x16x32_bf16 v[114:117], a[144:147], v[42:45], v[114:117]// 00000000A630: D3B50072 0DCA5590
	ds_read_b128 a[72:75], v20                                 // 00000000A638: DBFE0000 48000014
	ds_read_b128 a[76:79], v20 offset:1024                     // 00000000A640: DBFE0400 4C000014
	v_mfma_f32_16x16x32_bf16 v[118:121], a[148:151], v[42:45], v[118:121]// 00000000A648: D3B50076 0DDA5594
	ds_read_b128 a[80:83], v20 offset:2048                     // 00000000A650: DBFE0800 50000014
	ds_read_b128 a[84:87], v20 offset:3072                     // 00000000A658: DBFE0C00 54000014
	v_mfma_f32_16x16x32_bf16 v[122:125], a[152:155], v[42:45], v[122:125]// 00000000A660: D3B5007A 0DEA5598
	ds_read_b128 a[88:91], v20 offset:4096                     // 00000000A668: DBFE1000 58000014
	ds_read_b128 a[92:95], v20 offset:5120                     // 00000000A670: DBFE1400 5C000014
	v_mfma_f32_16x16x32_bf16 v[126:129], a[156:159], v[42:45], v[126:129]// 00000000A678: D3B5007E 0DFA559C
	ds_read_b128 a[96:99], v20 offset:6144                     // 00000000A680: DBFE1800 60000014
	ds_read_b128 a[100:103], v20 offset:7168                   // 00000000A688: DBFE1C00 64000014
	v_mfma_f32_16x16x32_bf16 v[130:133], a[160:163], v[42:45], v[130:133]// 00000000A690: D3B50082 0E0A55A0
	ds_read_b128 a[104:107], v20 offset:8192                   // 00000000A698: DBFE2000 68000014
	ds_read_b128 a[108:111], v20 offset:9216                   // 00000000A6A0: DBFE2400 6C000014
	v_mfma_f32_16x16x32_bf16 v[134:137], a[164:167], v[42:45], v[134:137]// 00000000A6A8: D3B50086 0E1A55A4
	ds_read_b128 a[112:115], v20 offset:10240                  // 00000000A6B0: DBFE2800 70000014
	ds_read_b128 a[116:119], v20 offset:11264                  // 00000000A6B8: DBFE2C00 74000014
	v_mfma_f32_16x16x32_bf16 v[138:141], a[168:171], v[42:45], v[138:141]// 00000000A6C0: D3B5008A 0E2A55A8
	ds_read_b128 a[120:123], v20 offset:12288                  // 00000000A6C8: DBFE3000 78000014
	ds_read_b128 a[124:127], v20 offset:13312                  // 00000000A6D0: DBFE3400 7C000014
	v_mfma_f32_16x16x32_bf16 v[142:145], a[172:175], v[42:45], v[142:145]// 00000000A6D8: D3B5008E 0E3A55AC
	ds_read_b128 a[128:131], v20 offset:14336                  // 00000000A6E0: DBFE3800 80000014
	ds_read_b128 a[132:135], v20 offset:15360                  // 00000000A6E8: DBFE3C00 84000014
	v_mfma_f32_16x16x32_bf16 v[146:149], a[176:179], v[42:45], v[146:149]// 00000000A6F0: D3B50092 0E4A55B0
	ds_read_b128 a[136:139], v20 offset:16384                  // 00000000A6F8: DBFE4000 88000014
	ds_read_b128 a[140:143], v20 offset:17408                  // 00000000A700: DBFE4400 8C000014
	v_mfma_f32_16x16x32_bf16 v[150:153], a[180:183], v[42:45], v[150:153]// 00000000A708: D3B50096 0E5A55B4
	v_mfma_f32_16x16x32_bf16 v[154:157], a[184:187], v[42:45], v[154:157]// 00000000A710: D3B5009A 0E6A55B8
	v_mfma_f32_16x16x32_bf16 v[158:161], a[188:191], v[42:45], v[158:161]// 00000000A718: D3B5009E 0E7A55BC
	v_mfma_f32_16x16x32_bf16 v[162:165], a[192:195], v[42:45], v[162:165]// 00000000A720: D3B500A2 0E8A55C0
	v_mfma_f32_16x16x32_bf16 v[166:169], a[196:199], v[42:45], v[166:169]// 00000000A728: D3B500A6 0E9A55C4
	v_mfma_f32_16x16x32_bf16 v[170:173], a[200:203], v[42:45], v[170:173]// 00000000A730: D3B500AA 0EAA55C8
	v_mfma_f32_16x16x32_bf16 v[174:177], a[204:207], v[42:45], v[174:177]// 00000000A738: D3B500AE 0EBA55CC
	s_branch label_8C54                                        // 00000000A740: BF820284

000000000000a744 <label_8244>:
	s_sub_u32 s56, s71, 2                                      // 00000000A744: 80B88247
	s_mul_i32 s56, s84, s56                                    // 00000000A748: 92383854
	s_add_u32 s83, s56, s83                                    // 00000000A74C: 80535338
	s_cmp_le_i32 s83, s82                                      // 00000000A750: BF055253
	s_cbranch_scc1 label_8350                                  // 00000000A754: BF85003E
	v_mov_b32_e32 v28, s82                                     // 00000000A758: 7E380252
	s_lshl_b32 s56, s2, 1                                      // 00000000A75C: 8E388102
	s_lshr_b32 s57, s7, 1                                      // 00000000A760: 8F398107
	s_add_u32 s56, s56, s57                                    // 00000000A764: 80383938
	v_add_u32_e32 v28, s56, v28                                // 00000000A768: 68383838
	s_sub_u32 s56, s83, 31                                     // 00000000A76C: 80B89F53
	v_lshrrev_b32_e32 v18, 4, v0                               // 00000000A770: 20240084
	v_mul_i32_i24_e32 v18, 4, v18                              // 00000000A774: 0C242484
	v_add_u32_e32 v18, s56, v18                                // 00000000A778: 68242438
	v_add_u32_e32 v19, 1, v18                                  // 00000000A77C: 68262481
	v_add_u32_e32 v20, 2, v18                                  // 00000000A780: 68282482
	v_add_u32_e32 v21, 3, v18                                  // 00000000A784: 682A2483
	v_mov_b32_e32 v29, 0xff800000                              // 00000000A788: 7E3A02FF FF800000
	v_cmp_le_u32_e64 s[36:37], v18, v28                        // 00000000A790: D0CB0024 00023912
	v_add_u32_e32 v18, 16, v18                                 // 00000000A798: 68242490
	s_nop 0                                                    // 00000000A79C: BF800000
	v_cndmask_b32_e64 v34, v29, v34, s[36:37]                  // 00000000A7A0: D1000022 0092451D
	v_cmp_le_u32_e64 s[36:37], v19, v28                        // 00000000A7A8: D0CB0024 00023913
	v_add_u32_e32 v19, 16, v19                                 // 00000000A7B0: 68262690
	s_nop 0                                                    // 00000000A7B4: BF800000
	v_cndmask_b32_e64 v35, v29, v35, s[36:37]                  // 00000000A7B8: D1000023 0092471D
	v_cmp_le_u32_e64 s[36:37], v20, v28                        // 00000000A7C0: D0CB0024 00023914
	v_add_u32_e32 v20, 16, v20                                 // 00000000A7C8: 68282890
	s_nop 0                                                    // 00000000A7CC: BF800000
	v_cndmask_b32_e64 v36, v29, v36, s[36:37]                  // 00000000A7D0: D1000024 0092491D
	v_cmp_le_u32_e64 s[36:37], v21, v28                        // 00000000A7D8: D0CB0024 00023915
	v_add_u32_e32 v21, 16, v21                                 // 00000000A7E0: 682A2A90
	s_nop 0                                                    // 00000000A7E4: BF800000
	v_cndmask_b32_e64 v37, v29, v37, s[36:37]                  // 00000000A7E8: D1000025 00924B1D
	v_cmp_le_u32_e64 s[36:37], v18, v28                        // 00000000A7F0: D0CB0024 00023912
	v_add_u32_e32 v18, 16, v18                                 // 00000000A7F8: 68242490
	s_nop 0                                                    // 00000000A7FC: BF800000
	v_cndmask_b32_e64 v38, v29, v38, s[36:37]                  // 00000000A800: D1000026 00924D1D
	v_cmp_le_u32_e64 s[36:37], v19, v28                        // 00000000A808: D0CB0024 00023913
	v_add_u32_e32 v19, 16, v19                                 // 00000000A810: 68262690
	s_nop 0                                                    // 00000000A814: BF800000
	v_cndmask_b32_e64 v39, v29, v39, s[36:37]                  // 00000000A818: D1000027 00924F1D
	v_cmp_le_u32_e64 s[36:37], v20, v28                        // 00000000A820: D0CB0024 00023914
	v_add_u32_e32 v20, 16, v20                                 // 00000000A828: 68282890
	s_nop 0                                                    // 00000000A82C: BF800000
	v_cndmask_b32_e64 v40, v29, v40, s[36:37]                  // 00000000A830: D1000028 0092511D
	v_cmp_le_u32_e64 s[36:37], v21, v28                        // 00000000A838: D0CB0024 00023915
	v_add_u32_e32 v21, 16, v21                                 // 00000000A840: 682A2A90
	s_nop 0                                                    // 00000000A844: BF800000
	v_cndmask_b32_e64 v41, v29, v41, s[36:37]                  // 00000000A848: D1000029 0092531D

000000000000a850 <label_8350>:
	s_add_u32 s83, s84, s83                                    // 00000000A850: 80535354
	s_nop 2                                                    // 00000000A854: BF800002
	v_mov_b32_e32 v29, v34                                     // 00000000A858: 7E3A0322
	v_max3_f32 v29, v34, v35, v29                              // 00000000A85C: D1D3001D 04764722
	v_max3_f32 v29, v36, v37, v29                              // 00000000A864: D1D3001D 04764B24
	v_max3_f32 v29, v38, v39, v29                              // 00000000A86C: D1D3001D 04764F26
	v_max3_f32 v29, v40, v41, v29                              // 00000000A874: D1D3001D 04765328
	v_mov_b32_e32 v28, v29                                     // 00000000A87C: 7E38031D
	v_mov_b32_e32 v29, v29                                     // 00000000A880: 7E3A031D
	s_nop 1                                                    // 00000000A884: BF800001
	v_permlane16_swap_b32_e32 v28, v29                         // 00000000A888: 7E38B31D
	v_mov_b32_e32 v31, v28                                     // 00000000A88C: 7E3E031C
	v_mov_b32_e32 v30, v29                                     // 00000000A890: 7E3C031D
	s_nop 1                                                    // 00000000A894: BF800001
	v_permlane32_swap_b32_e32 v28, v29                         // 00000000A898: 7E38B51D
	v_permlane32_swap_b32_e32 v30, v31                         // 00000000A89C: 7E3CB51F
	v_max3_f32 v29, v28, v29, v29                              // 00000000A8A0: D1D3001D 04763B1C
	v_max3_f32 v29, v30, v31, v29                              // 00000000A8A8: D1D3001D 04763F1E
	v_mov_b32_e32 v28, 0xff800000                              // 00000000A8B0: 7E3802FF FF800000
	v_cmp_eq_u32_e64 s[36:37], v28, v2                         // 00000000A8B8: D0CA0024 0002051C
	v_max_f32_e32 v29, v29, v2                                 // 00000000A8C0: 163A051D
	v_sub_f32_e32 v16, v2, v29                                 // 00000000A8C4: 04203B02
	v_cndmask_b32_e64 v16, v16, 0, s[36:37]                    // 00000000A8C8: D1000010 00910110
	v_mov_b32_e32 v2, v29                                      // 00000000A8D0: 7E04031D
	v_mul_f32_e32 v29, s5, v29                                 // 00000000A8D4: 0A3A3A05
	v_mul_f32_e32 v16, s5, v16                                 // 00000000A8D8: 0A202005
	v_exp_f32_e32 v16, v16                                     // 00000000A8DC: 7E204110
	v_fma_f32 v34, v34, s5, -v29                               // 00000000A8E0: D1CB0022 84740B22
	v_fma_f32 v35, v35, s5, -v29                               // 00000000A8E8: D1CB0023 84740B23
	v_fma_f32 v36, v36, s5, -v29                               // 00000000A8F0: D1CB0024 84740B24
	v_fma_f32 v37, v37, s5, -v29                               // 00000000A8F8: D1CB0025 84740B25
	v_fma_f32 v38, v38, s5, -v29                               // 00000000A900: D1CB0026 84740B26
	v_fma_f32 v39, v39, s5, -v29                               // 00000000A908: D1CB0027 84740B27
	v_fma_f32 v40, v40, s5, -v29                               // 00000000A910: D1CB0028 84740B28
	v_fma_f32 v41, v41, s5, -v29                               // 00000000A918: D1CB0029 84740B29
	v_exp_f32_e32 v34, v34                                     // 00000000A920: 7E444122
	v_exp_f32_e32 v35, v35                                     // 00000000A924: 7E464123
	v_exp_f32_e32 v36, v36                                     // 00000000A928: 7E484124
	v_exp_f32_e32 v37, v37                                     // 00000000A92C: 7E4A4125
	v_exp_f32_e32 v38, v38                                     // 00000000A930: 7E4C4126
	v_exp_f32_e32 v39, v39                                     // 00000000A934: 7E4E4127
	v_exp_f32_e32 v40, v40                                     // 00000000A938: 7E504128
	v_exp_f32_e32 v41, v41                                     // 00000000A93C: 7E524129
	v_mul_f32_e32 v4, v16, v4                                  // 00000000A940: 0A080910
	v_mov_b32_e32 v28, v34                                     // 00000000A944: 7E380322
	v_add_f32_e32 v28, v35, v28                                // 00000000A948: 02383923
	v_add_f32_e32 v28, v36, v28                                // 00000000A94C: 02383924
	v_add_f32_e32 v28, v37, v28                                // 00000000A950: 02383925
	v_add_f32_e32 v28, v38, v28                                // 00000000A954: 02383926
	v_add_f32_e32 v28, v39, v28                                // 00000000A958: 02383927
	v_add_f32_e32 v28, v40, v28                                // 00000000A95C: 02383928
	v_add_f32_e32 v28, v41, v28                                // 00000000A960: 02383929
	v_add_f32_e32 v4, v28, v4                                  // 00000000A964: 0208091C
	v_cvt_pk_bf16_f32 v34, v34, v35                            // 00000000A968: D2680022 00024722
	v_cvt_pk_bf16_f32 v35, v36, v37                            // 00000000A970: D2680023 00024B24
	v_cvt_pk_bf16_f32 v36, v38, v39                            // 00000000A978: D2680024 00024F26
	v_cvt_pk_bf16_f32 v37, v40, v41                            // 00000000A980: D2680025 00025328
	s_nop 0                                                    // 00000000A988: BF800000
	v_permlane32_swap_b32_e32 v34, v36                         // 00000000A98C: 7E44B524
	v_permlane32_swap_b32_e32 v35, v37                         // 00000000A990: 7E46B525
	s_nop 0                                                    // 00000000A994: BF800000
	v_permlane16_swap_b32_e32 v34, v36                         // 00000000A998: 7E44B324
	v_permlane16_swap_b32_e32 v35, v37                         // 00000000A99C: 7E46B325
	s_waitcnt lgkmcnt(4)                                       // 00000000A9A0: BF8CC47F
	v_mfma_f32_16x16x32_bf16 v[50:53], a[144:147], v[42:45], v[50:53]// 00000000A9A4: D3B50032 0CCA5590
	v_mfma_f32_16x16x32_bf16 v[54:57], a[148:151], v[42:45], v[54:57]// 00000000A9AC: D3B50036 0CDA5594
	v_mfma_f32_16x16x32_bf16 v[58:61], a[152:155], v[42:45], v[58:61]// 00000000A9B4: D3B5003A 0CEA5598
	v_mfma_f32_16x16x32_bf16 v[62:65], a[156:159], v[42:45], v[62:65]// 00000000A9BC: D3B5003E 0CFA559C
	v_mfma_f32_16x16x32_bf16 v[66:69], a[160:163], v[42:45], v[66:69]// 00000000A9C4: D3B50042 0D0A55A0
	v_mfma_f32_16x16x32_bf16 v[70:73], a[164:167], v[42:45], v[70:73]// 00000000A9CC: D3B50046 0D1A55A4
	v_mfma_f32_16x16x32_bf16 v[74:77], a[168:171], v[42:45], v[74:77]// 00000000A9D4: D3B5004A 0D2A55A8
	v_mfma_f32_16x16x32_bf16 v[78:81], a[172:175], v[42:45], v[78:81]// 00000000A9DC: D3B5004E 0D3A55AC
	v_mfma_f32_16x16x32_bf16 v[82:85], a[176:179], v[42:45], v[82:85]// 00000000A9E4: D3B50052 0D4A55B0
	v_mfma_f32_16x16x32_bf16 v[86:89], a[180:183], v[42:45], v[86:89]// 00000000A9EC: D3B50056 0D5A55B4
	v_mfma_f32_16x16x32_bf16 v[90:93], a[184:187], v[42:45], v[90:93]// 00000000A9F4: D3B5005A 0D6A55B8
	v_mfma_f32_16x16x32_bf16 v[94:97], a[188:191], v[42:45], v[94:97]// 00000000A9FC: D3B5005E 0D7A55BC
	v_mfma_f32_16x16x32_bf16 v[98:101], a[192:195], v[42:45], v[98:101]// 00000000AA04: D3B50062 0D8A55C0
	v_mfma_f32_16x16x32_bf16 v[102:105], a[196:199], v[42:45], v[102:105]// 00000000AA0C: D3B50066 0D9A55C4
	v_mfma_f32_16x16x32_bf16 v[106:109], a[200:203], v[42:45], v[106:109]// 00000000AA14: D3B5006A 0DAA55C8
	v_mfma_f32_16x16x32_bf16 v[110:113], a[204:207], v[42:45], v[110:113]// 00000000AA1C: D3B5006E 0DBA55CC
	ds_read_b64_tr_b16 a[144:145], v10 offset:8192             // 00000000AA24: DBC62000 9000000A
	ds_read_b64_tr_b16 a[146:147], v10 offset:8448             // 00000000AA2C: DBC62100 9200000A
	ds_read_b64_tr_b16 a[148:149], v11 offset:8192             // 00000000AA34: DBC62000 9400000B
	ds_read_b64_tr_b16 a[150:151], v11 offset:8448             // 00000000AA3C: DBC62100 9600000B
	ds_read_b64_tr_b16 a[152:153], v10 offset:9216             // 00000000AA44: DBC62400 9800000A
	ds_read_b64_tr_b16 a[154:155], v10 offset:9472             // 00000000AA4C: DBC62500 9A00000A
	ds_read_b64_tr_b16 a[156:157], v11 offset:9216             // 00000000AA54: DBC62400 9C00000B
	ds_read_b64_tr_b16 a[158:159], v11 offset:9472             // 00000000AA5C: DBC62500 9E00000B
	ds_read_b64_tr_b16 a[160:161], v10 offset:10240            // 00000000AA64: DBC62800 A000000A
	ds_read_b64_tr_b16 a[162:163], v10 offset:10496            // 00000000AA6C: DBC62900 A200000A
	ds_read_b64_tr_b16 a[164:165], v11 offset:10240            // 00000000AA74: DBC62800 A400000B
	ds_read_b64_tr_b16 a[166:167], v11 offset:10496            // 00000000AA7C: DBC62900 A600000B
	ds_read_b64_tr_b16 a[168:169], v10 offset:11264            // 00000000AA84: DBC62C00 A800000A
	ds_read_b64_tr_b16 a[170:171], v10 offset:11520            // 00000000AA8C: DBC62D00 AA00000A
	ds_read_b64_tr_b16 a[172:173], v11 offset:11264            // 00000000AA94: DBC62C00 AC00000B
	ds_read_b64_tr_b16 a[174:175], v11 offset:11520            // 00000000AA9C: DBC62D00 AE00000B
	ds_read_b64_tr_b16 a[176:177], v10 offset:12288            // 00000000AAA4: DBC63000 B000000A
	ds_read_b64_tr_b16 a[178:179], v10 offset:12544            // 00000000AAAC: DBC63100 B200000A
	ds_read_b64_tr_b16 a[180:181], v11 offset:12288            // 00000000AAB4: DBC63000 B400000B
	ds_read_b64_tr_b16 a[182:183], v11 offset:12544            // 00000000AABC: DBC63100 B600000B
	ds_read_b64_tr_b16 a[184:185], v10 offset:13312            // 00000000AAC4: DBC63400 B800000A
	ds_read_b64_tr_b16 a[186:187], v10 offset:13568            // 00000000AACC: DBC63500 BA00000A
	ds_read_b64_tr_b16 a[188:189], v11 offset:13312            // 00000000AAD4: DBC63400 BC00000B
	ds_read_b64_tr_b16 a[190:191], v11 offset:13568            // 00000000AADC: DBC63500 BE00000B
	ds_read_b64_tr_b16 a[192:193], v10 offset:14336            // 00000000AAE4: DBC63800 C000000A
	ds_read_b64_tr_b16 a[194:195], v10 offset:14592            // 00000000AAEC: DBC63900 C200000A
	ds_read_b64_tr_b16 a[196:197], v11 offset:14336            // 00000000AAF4: DBC63800 C400000B
	ds_read_b64_tr_b16 a[198:199], v11 offset:14592            // 00000000AAFC: DBC63900 C600000B
	ds_read_b64_tr_b16 a[200:201], v10 offset:15360            // 00000000AB04: DBC63C00 C800000A
	ds_read_b64_tr_b16 a[202:203], v10 offset:15616            // 00000000AB0C: DBC63D00 CA00000A
	ds_read_b64_tr_b16 a[204:205], v11 offset:15360            // 00000000AB14: DBC63C00 CC00000B
	ds_read_b64_tr_b16 a[206:207], v11 offset:15616            // 00000000AB1C: DBC63D00 CE00000B
	s_waitcnt lgkmcnt(0)                                       // 00000000AB24: BF8CC07F
	v_mfma_f32_16x16x32_bf16 v[114:117], a[144:147], v[42:45], v[114:117]// 00000000AB28: D3B50072 0DCA5590
	v_mfma_f32_16x16x32_bf16 v[118:121], a[148:151], v[42:45], v[118:121]// 00000000AB30: D3B50076 0DDA5594
	v_mfma_f32_16x16x32_bf16 v[122:125], a[152:155], v[42:45], v[122:125]// 00000000AB38: D3B5007A 0DEA5598
	v_mfma_f32_16x16x32_bf16 v[126:129], a[156:159], v[42:45], v[126:129]// 00000000AB40: D3B5007E 0DFA559C
	v_mfma_f32_16x16x32_bf16 v[130:133], a[160:163], v[42:45], v[130:133]// 00000000AB48: D3B50082 0E0A55A0
	v_mfma_f32_16x16x32_bf16 v[134:137], a[164:167], v[42:45], v[134:137]// 00000000AB50: D3B50086 0E1A55A4
	v_mfma_f32_16x16x32_bf16 v[138:141], a[168:171], v[42:45], v[138:141]// 00000000AB58: D3B5008A 0E2A55A8
	v_mfma_f32_16x16x32_bf16 v[142:145], a[172:175], v[42:45], v[142:145]// 00000000AB60: D3B5008E 0E3A55AC
	v_mfma_f32_16x16x32_bf16 v[146:149], a[176:179], v[42:45], v[146:149]// 00000000AB68: D3B50092 0E4A55B0
	v_mfma_f32_16x16x32_bf16 v[150:153], a[180:183], v[42:45], v[150:153]// 00000000AB70: D3B50096 0E5A55B4
	v_mfma_f32_16x16x32_bf16 v[154:157], a[184:187], v[42:45], v[154:157]// 00000000AB78: D3B5009A 0E6A55B8
	v_mfma_f32_16x16x32_bf16 v[158:161], a[188:191], v[42:45], v[158:161]// 00000000AB80: D3B5009E 0E7A55BC
	v_mfma_f32_16x16x32_bf16 v[162:165], a[192:195], v[42:45], v[162:165]// 00000000AB88: D3B500A2 0E8A55C0
	v_mfma_f32_16x16x32_bf16 v[166:169], a[196:199], v[42:45], v[166:169]// 00000000AB90: D3B500A6 0E9A55C4
	v_mfma_f32_16x16x32_bf16 v[170:173], a[200:203], v[42:45], v[170:173]// 00000000AB98: D3B500AA 0EAA55C8
	v_mfma_f32_16x16x32_bf16 v[174:177], a[204:207], v[42:45], v[174:177]// 00000000ABA0: D3B500AE 0EBA55CC
	ds_read_b64_tr_b16 a[144:145], v12                         // 00000000ABA8: DBC60000 9000000C
	ds_read_b64_tr_b16 a[146:147], v12 offset:256              // 00000000ABB0: DBC60100 9200000C
	ds_read_b64_tr_b16 a[148:149], v13                         // 00000000ABB8: DBC60000 9400000D
	ds_read_b64_tr_b16 a[150:151], v13 offset:256              // 00000000ABC0: DBC60100 9600000D
	ds_read_b64_tr_b16 a[152:153], v12 offset:1024             // 00000000ABC8: DBC60400 9800000C
	ds_read_b64_tr_b16 a[154:155], v12 offset:1280             // 00000000ABD0: DBC60500 9A00000C
	ds_read_b64_tr_b16 a[156:157], v13 offset:1024             // 00000000ABD8: DBC60400 9C00000D
	ds_read_b64_tr_b16 a[158:159], v13 offset:1280             // 00000000ABE0: DBC60500 9E00000D
	ds_read_b64_tr_b16 a[160:161], v12 offset:2048             // 00000000ABE8: DBC60800 A000000C
	ds_read_b64_tr_b16 a[162:163], v12 offset:2304             // 00000000ABF0: DBC60900 A200000C
	ds_read_b64_tr_b16 a[164:165], v13 offset:2048             // 00000000ABF8: DBC60800 A400000D
	ds_read_b64_tr_b16 a[166:167], v13 offset:2304             // 00000000AC00: DBC60900 A600000D
	ds_read_b64_tr_b16 a[168:169], v12 offset:3072             // 00000000AC08: DBC60C00 A800000C
	ds_read_b64_tr_b16 a[170:171], v12 offset:3328             // 00000000AC10: DBC60D00 AA00000C
	ds_read_b64_tr_b16 a[172:173], v13 offset:3072             // 00000000AC18: DBC60C00 AC00000D
	ds_read_b64_tr_b16 a[174:175], v13 offset:3328             // 00000000AC20: DBC60D00 AE00000D
	ds_read_b64_tr_b16 a[176:177], v12 offset:4096             // 00000000AC28: DBC61000 B000000C
	ds_read_b64_tr_b16 a[178:179], v12 offset:4352             // 00000000AC30: DBC61100 B200000C
	ds_read_b64_tr_b16 a[180:181], v13 offset:4096             // 00000000AC38: DBC61000 B400000D
	ds_read_b64_tr_b16 a[182:183], v13 offset:4352             // 00000000AC40: DBC61100 B600000D
	ds_read_b64_tr_b16 a[184:185], v12 offset:5120             // 00000000AC48: DBC61400 B800000C
	ds_read_b64_tr_b16 a[186:187], v12 offset:5376             // 00000000AC50: DBC61500 BA00000C
	ds_read_b64_tr_b16 a[188:189], v13 offset:5120             // 00000000AC58: DBC61400 BC00000D
	ds_read_b64_tr_b16 a[190:191], v13 offset:5376             // 00000000AC60: DBC61500 BE00000D
	ds_read_b64_tr_b16 a[192:193], v12 offset:6144             // 00000000AC68: DBC61800 C000000C
	ds_read_b64_tr_b16 a[194:195], v12 offset:6400             // 00000000AC70: DBC61900 C200000C
	ds_read_b64_tr_b16 a[196:197], v13 offset:6144             // 00000000AC78: DBC61800 C400000D
	ds_read_b64_tr_b16 a[198:199], v13 offset:6400             // 00000000AC80: DBC61900 C600000D
	ds_read_b64_tr_b16 a[200:201], v12 offset:7168             // 00000000AC88: DBC61C00 C800000C
	ds_read_b64_tr_b16 a[202:203], v12 offset:7424             // 00000000AC90: DBC61D00 CA00000C
	ds_read_b64_tr_b16 a[204:205], v13 offset:7168             // 00000000AC98: DBC61C00 CC00000D
	ds_read_b64_tr_b16 a[206:207], v13 offset:7424             // 00000000ACA0: DBC61D00 CE00000D
	v_mov_b32_e32 v30, v16                                     // 00000000ACA8: 7E3C0310
	v_mov_b32_e32 v31, v16                                     // 00000000ACAC: 7E3E0310
	v_pk_mul_f32 v[50:51], v[30:31], v[50:51]                  // 00000000ACB0: D3B14032 1802651E
	v_pk_mul_f32 v[52:53], v[30:31], v[52:53]                  // 00000000ACB8: D3B14034 1802691E
	v_pk_mul_f32 v[54:55], v[30:31], v[54:55]                  // 00000000ACC0: D3B14036 18026D1E
	v_pk_mul_f32 v[56:57], v[30:31], v[56:57]                  // 00000000ACC8: D3B14038 1802711E
	v_pk_mul_f32 v[58:59], v[30:31], v[58:59]                  // 00000000ACD0: D3B1403A 1802751E
	v_pk_mul_f32 v[60:61], v[30:31], v[60:61]                  // 00000000ACD8: D3B1403C 1802791E
	v_pk_mul_f32 v[62:63], v[30:31], v[62:63]                  // 00000000ACE0: D3B1403E 18027D1E
	v_pk_mul_f32 v[64:65], v[30:31], v[64:65]                  // 00000000ACE8: D3B14040 1802811E
	v_pk_mul_f32 v[66:67], v[30:31], v[66:67]                  // 00000000ACF0: D3B14042 1802851E
	v_pk_mul_f32 v[68:69], v[30:31], v[68:69]                  // 00000000ACF8: D3B14044 1802891E
	v_pk_mul_f32 v[70:71], v[30:31], v[70:71]                  // 00000000AD00: D3B14046 18028D1E
	v_pk_mul_f32 v[72:73], v[30:31], v[72:73]                  // 00000000AD08: D3B14048 1802911E
	v_pk_mul_f32 v[74:75], v[30:31], v[74:75]                  // 00000000AD10: D3B1404A 1802951E
	v_pk_mul_f32 v[76:77], v[30:31], v[76:77]                  // 00000000AD18: D3B1404C 1802991E
	v_pk_mul_f32 v[78:79], v[30:31], v[78:79]                  // 00000000AD20: D3B1404E 18029D1E
	v_pk_mul_f32 v[80:81], v[30:31], v[80:81]                  // 00000000AD28: D3B14050 1802A11E
	v_pk_mul_f32 v[82:83], v[30:31], v[82:83]                  // 00000000AD30: D3B14052 1802A51E
	v_pk_mul_f32 v[84:85], v[30:31], v[84:85]                  // 00000000AD38: D3B14054 1802A91E
	v_pk_mul_f32 v[86:87], v[30:31], v[86:87]                  // 00000000AD40: D3B14056 1802AD1E
	v_pk_mul_f32 v[88:89], v[30:31], v[88:89]                  // 00000000AD48: D3B14058 1802B11E
	v_pk_mul_f32 v[90:91], v[30:31], v[90:91]                  // 00000000AD50: D3B1405A 1802B51E
	v_pk_mul_f32 v[92:93], v[30:31], v[92:93]                  // 00000000AD58: D3B1405C 1802B91E
	v_pk_mul_f32 v[94:95], v[30:31], v[94:95]                  // 00000000AD60: D3B1405E 1802BD1E
	v_pk_mul_f32 v[96:97], v[30:31], v[96:97]                  // 00000000AD68: D3B14060 1802C11E
	v_pk_mul_f32 v[98:99], v[30:31], v[98:99]                  // 00000000AD70: D3B14062 1802C51E
	v_pk_mul_f32 v[100:101], v[30:31], v[100:101]              // 00000000AD78: D3B14064 1802C91E
	v_pk_mul_f32 v[102:103], v[30:31], v[102:103]              // 00000000AD80: D3B14066 1802CD1E
	v_pk_mul_f32 v[104:105], v[30:31], v[104:105]              // 00000000AD88: D3B14068 1802D11E
	v_pk_mul_f32 v[106:107], v[30:31], v[106:107]              // 00000000AD90: D3B1406A 1802D51E
	v_pk_mul_f32 v[108:109], v[30:31], v[108:109]              // 00000000AD98: D3B1406C 1802D91E
	v_pk_mul_f32 v[110:111], v[30:31], v[110:111]              // 00000000ADA0: D3B1406E 1802DD1E
	v_pk_mul_f32 v[112:113], v[30:31], v[112:113]              // 00000000ADA8: D3B14070 1802E11E
	v_pk_mul_f32 v[114:115], v[30:31], v[114:115]              // 00000000ADB0: D3B14072 1802E51E
	v_pk_mul_f32 v[116:117], v[30:31], v[116:117]              // 00000000ADB8: D3B14074 1802E91E
	v_pk_mul_f32 v[118:119], v[30:31], v[118:119]              // 00000000ADC0: D3B14076 1802ED1E
	v_pk_mul_f32 v[120:121], v[30:31], v[120:121]              // 00000000ADC8: D3B14078 1802F11E
	v_pk_mul_f32 v[122:123], v[30:31], v[122:123]              // 00000000ADD0: D3B1407A 1802F51E
	v_pk_mul_f32 v[124:125], v[30:31], v[124:125]              // 00000000ADD8: D3B1407C 1802F91E
	v_pk_mul_f32 v[126:127], v[30:31], v[126:127]              // 00000000ADE0: D3B1407E 1802FD1E
	v_pk_mul_f32 v[128:129], v[30:31], v[128:129]              // 00000000ADE8: D3B14080 1803011E
	v_pk_mul_f32 v[130:131], v[30:31], v[130:131]              // 00000000ADF0: D3B14082 1803051E
	v_pk_mul_f32 v[132:133], v[30:31], v[132:133]              // 00000000ADF8: D3B14084 1803091E
	v_pk_mul_f32 v[134:135], v[30:31], v[134:135]              // 00000000AE00: D3B14086 18030D1E
	v_pk_mul_f32 v[136:137], v[30:31], v[136:137]              // 00000000AE08: D3B14088 1803111E
	v_pk_mul_f32 v[138:139], v[30:31], v[138:139]              // 00000000AE10: D3B1408A 1803151E
	v_pk_mul_f32 v[140:141], v[30:31], v[140:141]              // 00000000AE18: D3B1408C 1803191E
	v_pk_mul_f32 v[142:143], v[30:31], v[142:143]              // 00000000AE20: D3B1408E 18031D1E
	v_pk_mul_f32 v[144:145], v[30:31], v[144:145]              // 00000000AE28: D3B14090 1803211E
	v_pk_mul_f32 v[146:147], v[30:31], v[146:147]              // 00000000AE30: D3B14092 1803251E
	v_pk_mul_f32 v[148:149], v[30:31], v[148:149]              // 00000000AE38: D3B14094 1803291E
	v_pk_mul_f32 v[150:151], v[30:31], v[150:151]              // 00000000AE40: D3B14096 18032D1E
	v_pk_mul_f32 v[152:153], v[30:31], v[152:153]              // 00000000AE48: D3B14098 1803311E
	v_pk_mul_f32 v[154:155], v[30:31], v[154:155]              // 00000000AE50: D3B1409A 1803351E
	v_pk_mul_f32 v[156:157], v[30:31], v[156:157]              // 00000000AE58: D3B1409C 1803391E
	v_pk_mul_f32 v[158:159], v[30:31], v[158:159]              // 00000000AE60: D3B1409E 18033D1E
	v_pk_mul_f32 v[160:161], v[30:31], v[160:161]              // 00000000AE68: D3B140A0 1803411E
	v_pk_mul_f32 v[162:163], v[30:31], v[162:163]              // 00000000AE70: D3B140A2 1803451E
	v_pk_mul_f32 v[164:165], v[30:31], v[164:165]              // 00000000AE78: D3B140A4 1803491E
	v_pk_mul_f32 v[166:167], v[30:31], v[166:167]              // 00000000AE80: D3B140A6 18034D1E
	v_pk_mul_f32 v[168:169], v[30:31], v[168:169]              // 00000000AE88: D3B140A8 1803511E
	v_pk_mul_f32 v[170:171], v[30:31], v[170:171]              // 00000000AE90: D3B140AA 1803551E
	v_pk_mul_f32 v[172:173], v[30:31], v[172:173]              // 00000000AE98: D3B140AC 1803591E
	v_pk_mul_f32 v[174:175], v[30:31], v[174:175]              // 00000000AEA0: D3B140AE 18035D1E
	v_pk_mul_f32 v[176:177], v[30:31], v[176:177]              // 00000000AEA8: D3B140B0 1803611E
	s_waitcnt lgkmcnt(4)                                       // 00000000AEB0: BF8CC47F
	v_mfma_f32_16x16x32_bf16 v[50:53], a[144:147], v[34:37], v[50:53]// 00000000AEB4: D3B50032 0CCA4590
	v_mfma_f32_16x16x32_bf16 v[54:57], a[148:151], v[34:37], v[54:57]// 00000000AEBC: D3B50036 0CDA4594
	v_mfma_f32_16x16x32_bf16 v[58:61], a[152:155], v[34:37], v[58:61]// 00000000AEC4: D3B5003A 0CEA4598
	v_mfma_f32_16x16x32_bf16 v[62:65], a[156:159], v[34:37], v[62:65]// 00000000AECC: D3B5003E 0CFA459C
	v_mfma_f32_16x16x32_bf16 v[66:69], a[160:163], v[34:37], v[66:69]// 00000000AED4: D3B50042 0D0A45A0
	v_mfma_f32_16x16x32_bf16 v[70:73], a[164:167], v[34:37], v[70:73]// 00000000AEDC: D3B50046 0D1A45A4
	v_mfma_f32_16x16x32_bf16 v[74:77], a[168:171], v[34:37], v[74:77]// 00000000AEE4: D3B5004A 0D2A45A8
	v_mfma_f32_16x16x32_bf16 v[78:81], a[172:175], v[34:37], v[78:81]// 00000000AEEC: D3B5004E 0D3A45AC
	v_mfma_f32_16x16x32_bf16 v[82:85], a[176:179], v[34:37], v[82:85]// 00000000AEF4: D3B50052 0D4A45B0
	v_mfma_f32_16x16x32_bf16 v[86:89], a[180:183], v[34:37], v[86:89]// 00000000AEFC: D3B50056 0D5A45B4
	v_mfma_f32_16x16x32_bf16 v[90:93], a[184:187], v[34:37], v[90:93]// 00000000AF04: D3B5005A 0D6A45B8
	v_mfma_f32_16x16x32_bf16 v[94:97], a[188:191], v[34:37], v[94:97]// 00000000AF0C: D3B5005E 0D7A45BC
	v_mfma_f32_16x16x32_bf16 v[98:101], a[192:195], v[34:37], v[98:101]// 00000000AF14: D3B50062 0D8A45C0
	v_mfma_f32_16x16x32_bf16 v[102:105], a[196:199], v[34:37], v[102:105]// 00000000AF1C: D3B50066 0D9A45C4
	v_mfma_f32_16x16x32_bf16 v[106:109], a[200:203], v[34:37], v[106:109]// 00000000AF24: D3B5006A 0DAA45C8
	v_mfma_f32_16x16x32_bf16 v[110:113], a[204:207], v[34:37], v[110:113]// 00000000AF2C: D3B5006E 0DBA45CC
	ds_read_b64_tr_b16 a[144:145], v12 offset:8192             // 00000000AF34: DBC62000 9000000C
	ds_read_b64_tr_b16 a[146:147], v12 offset:8448             // 00000000AF3C: DBC62100 9200000C
	ds_read_b64_tr_b16 a[148:149], v13 offset:8192             // 00000000AF44: DBC62000 9400000D
	ds_read_b64_tr_b16 a[150:151], v13 offset:8448             // 00000000AF4C: DBC62100 9600000D
	ds_read_b64_tr_b16 a[152:153], v12 offset:9216             // 00000000AF54: DBC62400 9800000C
	ds_read_b64_tr_b16 a[154:155], v12 offset:9472             // 00000000AF5C: DBC62500 9A00000C
	ds_read_b64_tr_b16 a[156:157], v13 offset:9216             // 00000000AF64: DBC62400 9C00000D
	ds_read_b64_tr_b16 a[158:159], v13 offset:9472             // 00000000AF6C: DBC62500 9E00000D
	ds_read_b64_tr_b16 a[160:161], v12 offset:10240            // 00000000AF74: DBC62800 A000000C
	ds_read_b64_tr_b16 a[162:163], v12 offset:10496            // 00000000AF7C: DBC62900 A200000C
	ds_read_b64_tr_b16 a[164:165], v13 offset:10240            // 00000000AF84: DBC62800 A400000D
	ds_read_b64_tr_b16 a[166:167], v13 offset:10496            // 00000000AF8C: DBC62900 A600000D
	ds_read_b64_tr_b16 a[168:169], v12 offset:11264            // 00000000AF94: DBC62C00 A800000C
	ds_read_b64_tr_b16 a[170:171], v12 offset:11520            // 00000000AF9C: DBC62D00 AA00000C
	ds_read_b64_tr_b16 a[172:173], v13 offset:11264            // 00000000AFA4: DBC62C00 AC00000D
	ds_read_b64_tr_b16 a[174:175], v13 offset:11520            // 00000000AFAC: DBC62D00 AE00000D
	ds_read_b64_tr_b16 a[176:177], v12 offset:12288            // 00000000AFB4: DBC63000 B000000C
	ds_read_b64_tr_b16 a[178:179], v12 offset:12544            // 00000000AFBC: DBC63100 B200000C
	ds_read_b64_tr_b16 a[180:181], v13 offset:12288            // 00000000AFC4: DBC63000 B400000D
	ds_read_b64_tr_b16 a[182:183], v13 offset:12544            // 00000000AFCC: DBC63100 B600000D
	ds_read_b64_tr_b16 a[184:185], v12 offset:13312            // 00000000AFD4: DBC63400 B800000C
	ds_read_b64_tr_b16 a[186:187], v12 offset:13568            // 00000000AFDC: DBC63500 BA00000C
	ds_read_b64_tr_b16 a[188:189], v13 offset:13312            // 00000000AFE4: DBC63400 BC00000D
	ds_read_b64_tr_b16 a[190:191], v13 offset:13568            // 00000000AFEC: DBC63500 BE00000D
	ds_read_b64_tr_b16 a[192:193], v12 offset:14336            // 00000000AFF4: DBC63800 C000000C
	ds_read_b64_tr_b16 a[194:195], v12 offset:14592            // 00000000AFFC: DBC63900 C200000C
	ds_read_b64_tr_b16 a[196:197], v13 offset:14336            // 00000000B004: DBC63800 C400000D
	ds_read_b64_tr_b16 a[198:199], v13 offset:14592            // 00000000B00C: DBC63900 C600000D
	ds_read_b64_tr_b16 a[200:201], v12 offset:15360            // 00000000B014: DBC63C00 C800000C
	ds_read_b64_tr_b16 a[202:203], v12 offset:15616            // 00000000B01C: DBC63D00 CA00000C
	ds_read_b64_tr_b16 a[204:205], v13 offset:15360            // 00000000B024: DBC63C00 CC00000D
	ds_read_b64_tr_b16 a[206:207], v13 offset:15616            // 00000000B02C: DBC63D00 CE00000D
	s_waitcnt vmcnt(0)                                         // 00000000B034: BF8C0F70
	s_barrier                                                  // 00000000B038: BF8A0000
	s_waitcnt lgkmcnt(0)                                       // 00000000B03C: BF8CC07F
	v_mfma_f32_16x16x32_bf16 v[114:117], a[144:147], v[34:37], v[114:117]// 00000000B040: D3B50072 0DCA4590
	ds_read_b128 a[72:75], v21                                 // 00000000B048: DBFE0000 48000015
	ds_read_b128 a[76:79], v21 offset:1024                     // 00000000B050: DBFE0400 4C000015
	v_mfma_f32_16x16x32_bf16 v[118:121], a[148:151], v[34:37], v[118:121]// 00000000B058: D3B50076 0DDA4594
	ds_read_b128 a[80:83], v21 offset:2048                     // 00000000B060: DBFE0800 50000015
	ds_read_b128 a[84:87], v21 offset:3072                     // 00000000B068: DBFE0C00 54000015
	v_mfma_f32_16x16x32_bf16 v[122:125], a[152:155], v[34:37], v[122:125]// 00000000B070: D3B5007A 0DEA4598
	ds_read_b128 a[88:91], v21 offset:4096                     // 00000000B078: DBFE1000 58000015
	ds_read_b128 a[92:95], v21 offset:5120                     // 00000000B080: DBFE1400 5C000015
	v_mfma_f32_16x16x32_bf16 v[126:129], a[156:159], v[34:37], v[126:129]// 00000000B088: D3B5007E 0DFA459C
	ds_read_b128 a[96:99], v21 offset:6144                     // 00000000B090: DBFE1800 60000015
	ds_read_b128 a[100:103], v21 offset:7168                   // 00000000B098: DBFE1C00 64000015
	v_mfma_f32_16x16x32_bf16 v[130:133], a[160:163], v[34:37], v[130:133]// 00000000B0A0: D3B50082 0E0A45A0
	ds_read_b128 a[104:107], v21 offset:8192                   // 00000000B0A8: DBFE2000 68000015
	ds_read_b128 a[108:111], v21 offset:9216                   // 00000000B0B0: DBFE2400 6C000015
	v_mfma_f32_16x16x32_bf16 v[134:137], a[164:167], v[34:37], v[134:137]// 00000000B0B8: D3B50086 0E1A45A4
	ds_read_b128 a[112:115], v21 offset:10240                  // 00000000B0C0: DBFE2800 70000015
	ds_read_b128 a[116:119], v21 offset:11264                  // 00000000B0C8: DBFE2C00 74000015
	v_mfma_f32_16x16x32_bf16 v[138:141], a[168:171], v[34:37], v[138:141]// 00000000B0D0: D3B5008A 0E2A45A8
	ds_read_b128 a[120:123], v21 offset:12288                  // 00000000B0D8: DBFE3000 78000015
	ds_read_b128 a[124:127], v21 offset:13312                  // 00000000B0E0: DBFE3400 7C000015
	v_mfma_f32_16x16x32_bf16 v[142:145], a[172:175], v[34:37], v[142:145]// 00000000B0E8: D3B5008E 0E3A45AC
	ds_read_b128 a[128:131], v21 offset:14336                  // 00000000B0F0: DBFE3800 80000015
	ds_read_b128 a[132:135], v21 offset:15360                  // 00000000B0F8: DBFE3C00 84000015
	v_mfma_f32_16x16x32_bf16 v[146:149], a[176:179], v[34:37], v[146:149]// 00000000B100: D3B50092 0E4A45B0
	ds_read_b128 a[136:139], v21 offset:16384                  // 00000000B108: DBFE4000 88000015
	ds_read_b128 a[140:143], v21 offset:17408                  // 00000000B110: DBFE4400 8C000015
	v_mfma_f32_16x16x32_bf16 v[150:153], a[180:183], v[34:37], v[150:153]// 00000000B118: D3B50096 0E5A45B4
	v_mfma_f32_16x16x32_bf16 v[154:157], a[184:187], v[34:37], v[154:157]// 00000000B120: D3B5009A 0E6A45B8
	v_mfma_f32_16x16x32_bf16 v[158:161], a[188:191], v[34:37], v[158:161]// 00000000B128: D3B5009E 0E7A45BC
	v_mfma_f32_16x16x32_bf16 v[162:165], a[192:195], v[34:37], v[162:165]// 00000000B130: D3B500A2 0E8A45C0
	v_mfma_f32_16x16x32_bf16 v[166:169], a[196:199], v[34:37], v[166:169]// 00000000B138: D3B500A6 0E9A45C4
	v_mfma_f32_16x16x32_bf16 v[170:173], a[200:203], v[34:37], v[170:173]// 00000000B140: D3B500AA 0EAA45C8
	v_mfma_f32_16x16x32_bf16 v[174:177], a[204:207], v[34:37], v[174:177]// 00000000B148: D3B500AE 0EBA45CC
	s_branch label_8C54                                        // 00000000B150: BF820000

000000000000b154 <label_8C54>:
	s_cmp_eq_i32 s48, 0                                        // 00000000B154: BF008030
	s_cbranch_scc1 label_B6B8                                  // 00000000B158: BF850A15

000000000000b15c <label_8C5C>:
	s_and_b32 s56, 3, s71                                      // 00000000B15C: 86384783
	s_cmp_eq_i32 s56, 0                                        // 00000000B160: BF008038
	s_cbranch_scc1 label_A098                                  // 00000000B164: BF85050C
	s_cmp_eq_i32 s56, 1                                        // 00000000B168: BF008138
	s_cbranch_scc1 label_AAA4                                  // 00000000B16C: BF85078D
	s_cmp_eq_i32 s56, 3                                        // 00000000B170: BF008338
	s_cbranch_scc1 label_968C                                  // 00000000B174: BF850285
	s_cmp_eq_i32 s56, 2                                        // 00000000B178: BF008238
	s_cbranch_scc1 label_8C80                                  // 00000000B17C: BF850000

000000000000b180 <label_8C80>:
	s_waitcnt lgkmcnt(0)                                       // 00000000B180: BF8CC07F
	v_mfma_f32_16x16x32_bf16 v[34:37], a[72:75], a[0:3], 0     // 00000000B184: D3B50022 1A020148
	v_mfma_f32_16x16x32_bf16 v[34:37], a[76:79], a[4:7], v[34:37]// 00000000B18C: D3B50022 1C8A094C
	v_mfma_f32_16x16x32_bf16 v[34:37], a[80:83], a[8:11], v[34:37]// 00000000B194: D3B50022 1C8A1150
	v_mfma_f32_16x16x32_bf16 v[34:37], a[84:87], a[12:15], v[34:37]// 00000000B19C: D3B50022 1C8A1954
	v_mfma_f32_16x16x32_bf16 v[34:37], a[88:91], a[16:19], v[34:37]// 00000000B1A4: D3B50022 1C8A2158
	v_mfma_f32_16x16x32_bf16 v[34:37], a[92:95], a[20:23], v[34:37]// 00000000B1AC: D3B50022 1C8A295C
	v_mfma_f32_16x16x32_bf16 v[34:37], a[96:99], a[24:27], v[34:37]// 00000000B1B4: D3B50022 1C8A3160
	v_mfma_f32_16x16x32_bf16 v[34:37], a[100:103], a[28:31], v[34:37]// 00000000B1BC: D3B50022 1C8A3964
	ds_read_b128 a[72:75], v18 offset:18432                    // 00000000B1C4: DBFE4800 48000012
	ds_read_b128 a[76:79], v18 offset:19456                    // 00000000B1CC: DBFE4C00 4C000012
	v_mfma_f32_16x16x32_bf16 v[34:37], a[104:107], a[32:35], v[34:37]// 00000000B1D4: D3B50022 1C8A4168
	v_mfma_f32_16x16x32_bf16 v[34:37], a[108:111], a[36:39], v[34:37]// 00000000B1DC: D3B50022 1C8A496C
	ds_read_b128 a[80:83], v18 offset:20480                    // 00000000B1E4: DBFE5000 50000012
	ds_read_b128 a[84:87], v18 offset:21504                    // 00000000B1EC: DBFE5400 54000012
	v_mfma_f32_16x16x32_bf16 v[34:37], a[112:115], a[40:43], v[34:37]// 00000000B1F4: D3B50022 1C8A5170
	v_mfma_f32_16x16x32_bf16 v[34:37], a[116:119], a[44:47], v[34:37]// 00000000B1FC: D3B50022 1C8A5974
	ds_read_b128 a[88:91], v18 offset:22528                    // 00000000B204: DBFE5800 58000012
	ds_read_b128 a[92:95], v18 offset:23552                    // 00000000B20C: DBFE5C00 5C000012
	v_mfma_f32_16x16x32_bf16 v[34:37], a[120:123], a[48:51], v[34:37]// 00000000B214: D3B50022 1C8A6178
	v_mfma_f32_16x16x32_bf16 v[34:37], a[124:127], a[52:55], v[34:37]// 00000000B21C: D3B50022 1C8A697C
	ds_read_b128 a[96:99], v18 offset:24576                    // 00000000B224: DBFE6000 60000012
	ds_read_b128 a[100:103], v18 offset:25600                  // 00000000B22C: DBFE6400 64000012
	v_mfma_f32_16x16x32_bf16 v[34:37], a[128:131], a[56:59], v[34:37]// 00000000B234: D3B50022 1C8A7180
	v_mfma_f32_16x16x32_bf16 v[34:37], a[132:135], a[60:63], v[34:37]// 00000000B23C: D3B50022 1C8A7984
	ds_read_b128 a[104:107], v18 offset:26624                  // 00000000B244: DBFE6800 68000012
	ds_read_b128 a[108:111], v18 offset:27648                  // 00000000B24C: DBFE6C00 6C000012
	v_mfma_f32_16x16x32_bf16 v[34:37], a[136:139], a[64:67], v[34:37]// 00000000B254: D3B50022 1C8A8188
	v_mfma_f32_16x16x32_bf16 v[34:37], a[140:143], a[68:71], v[34:37]// 00000000B25C: D3B50022 1C8A898C
	ds_read_b128 a[112:115], v18 offset:28672                  // 00000000B264: DBFE7000 70000012
	ds_read_b128 a[116:119], v18 offset:29696                  // 00000000B26C: DBFE7400 74000012
	ds_read_b128 a[120:123], v18 offset:30720                  // 00000000B274: DBFE7800 78000012
	ds_read_b128 a[124:127], v18 offset:31744                  // 00000000B27C: DBFE7C00 7C000012
	ds_read_b128 a[128:131], v18 offset:32768                  // 00000000B284: DBFE8000 80000012
	ds_read_b128 a[132:135], v18 offset:33792                  // 00000000B28C: DBFE8400 84000012
	ds_read_b128 a[136:139], v18 offset:34816                  // 00000000B294: DBFE8800 88000012
	ds_read_b128 a[140:143], v18 offset:35840                  // 00000000B29C: DBFE8C00 8C000012
	s_waitcnt lgkmcnt(0)                                       // 00000000B2A4: BF8CC07F
	v_mfma_f32_16x16x32_bf16 v[38:41], a[72:75], a[0:3], 0     // 00000000B2A8: D3B50026 1A020148
	ds_read_b64_tr_b16 a[144:145], v8                          // 00000000B2B0: DBC60000 90000008
	ds_read_b64_tr_b16 a[146:147], v8 offset:256               // 00000000B2B8: DBC60100 92000008
	ds_read_b64_tr_b16 a[148:149], v9                          // 00000000B2C0: DBC60000 94000009
	ds_read_b64_tr_b16 a[150:151], v9 offset:256               // 00000000B2C8: DBC60100 96000009
	v_mfma_f32_16x16x32_bf16 v[38:41], a[76:79], a[4:7], v[38:41]// 00000000B2D0: D3B50026 1C9A094C
	ds_read_b64_tr_b16 a[152:153], v8 offset:1024              // 00000000B2D8: DBC60400 98000008
	ds_read_b64_tr_b16 a[154:155], v8 offset:1280              // 00000000B2E0: DBC60500 9A000008
	ds_read_b64_tr_b16 a[156:157], v9 offset:1024              // 00000000B2E8: DBC60400 9C000009
	ds_read_b64_tr_b16 a[158:159], v9 offset:1280              // 00000000B2F0: DBC60500 9E000009
	v_mfma_f32_16x16x32_bf16 v[38:41], a[80:83], a[8:11], v[38:41]// 00000000B2F8: D3B50026 1C9A1150
	ds_read_b64_tr_b16 a[160:161], v8 offset:2048              // 00000000B300: DBC60800 A0000008
	ds_read_b64_tr_b16 a[162:163], v8 offset:2304              // 00000000B308: DBC60900 A2000008
	ds_read_b64_tr_b16 a[164:165], v9 offset:2048              // 00000000B310: DBC60800 A4000009
	ds_read_b64_tr_b16 a[166:167], v9 offset:2304              // 00000000B318: DBC60900 A6000009
	v_mfma_f32_16x16x32_bf16 v[38:41], a[84:87], a[12:15], v[38:41]// 00000000B320: D3B50026 1C9A1954
	ds_read_b64_tr_b16 a[168:169], v8 offset:3072              // 00000000B328: DBC60C00 A8000008
	ds_read_b64_tr_b16 a[170:171], v8 offset:3328              // 00000000B330: DBC60D00 AA000008
	ds_read_b64_tr_b16 a[172:173], v9 offset:3072              // 00000000B338: DBC60C00 AC000009
	ds_read_b64_tr_b16 a[174:175], v9 offset:3328              // 00000000B340: DBC60D00 AE000009
	v_mfma_f32_16x16x32_bf16 v[38:41], a[88:91], a[16:19], v[38:41]// 00000000B348: D3B50026 1C9A2158
	ds_read_b64_tr_b16 a[176:177], v8 offset:4096              // 00000000B350: DBC61000 B0000008
	ds_read_b64_tr_b16 a[178:179], v8 offset:4352              // 00000000B358: DBC61100 B2000008
	ds_read_b64_tr_b16 a[180:181], v9 offset:4096              // 00000000B360: DBC61000 B4000009
	ds_read_b64_tr_b16 a[182:183], v9 offset:4352              // 00000000B368: DBC61100 B6000009
	v_mfma_f32_16x16x32_bf16 v[38:41], a[92:95], a[20:23], v[38:41]// 00000000B370: D3B50026 1C9A295C
	ds_read_b64_tr_b16 a[184:185], v8 offset:5120              // 00000000B378: DBC61400 B8000008
	ds_read_b64_tr_b16 a[186:187], v8 offset:5376              // 00000000B380: DBC61500 BA000008
	ds_read_b64_tr_b16 a[188:189], v9 offset:5120              // 00000000B388: DBC61400 BC000009
	ds_read_b64_tr_b16 a[190:191], v9 offset:5376              // 00000000B390: DBC61500 BE000009
	v_mfma_f32_16x16x32_bf16 v[38:41], a[96:99], a[24:27], v[38:41]// 00000000B398: D3B50026 1C9A3160
	ds_read_b64_tr_b16 a[192:193], v8 offset:6144              // 00000000B3A0: DBC61800 C0000008
	ds_read_b64_tr_b16 a[194:195], v8 offset:6400              // 00000000B3A8: DBC61900 C2000008
	ds_read_b64_tr_b16 a[196:197], v9 offset:6144              // 00000000B3B0: DBC61800 C4000009
	ds_read_b64_tr_b16 a[198:199], v9 offset:6400              // 00000000B3B8: DBC61900 C6000009
	v_mfma_f32_16x16x32_bf16 v[38:41], a[100:103], a[28:31], v[38:41]// 00000000B3C0: D3B50026 1C9A3964
	ds_read_b64_tr_b16 a[200:201], v8 offset:7168              // 00000000B3C8: DBC61C00 C8000008
	ds_read_b64_tr_b16 a[202:203], v8 offset:7424              // 00000000B3D0: DBC61D00 CA000008
	ds_read_b64_tr_b16 a[204:205], v9 offset:7168              // 00000000B3D8: DBC61C00 CC000009
	ds_read_b64_tr_b16 a[206:207], v9 offset:7424              // 00000000B3E0: DBC61D00 CE000009
	v_mfma_f32_16x16x32_bf16 v[38:41], a[104:107], a[32:35], v[38:41]// 00000000B3E8: D3B50026 1C9A4168
	v_mfma_f32_16x16x32_bf16 v[38:41], a[108:111], a[36:39], v[38:41]// 00000000B3F0: D3B50026 1C9A496C
	v_mfma_f32_16x16x32_bf16 v[38:41], a[112:115], a[40:43], v[38:41]// 00000000B3F8: D3B50026 1C9A5170
	v_mfma_f32_16x16x32_bf16 v[38:41], a[116:119], a[44:47], v[38:41]// 00000000B400: D3B50026 1C9A5974
	v_mfma_f32_16x16x32_bf16 v[38:41], a[120:123], a[48:51], v[38:41]// 00000000B408: D3B50026 1C9A6178
	v_mfma_f32_16x16x32_bf16 v[38:41], a[124:127], a[52:55], v[38:41]// 00000000B410: D3B50026 1C9A697C
	v_mfma_f32_16x16x32_bf16 v[38:41], a[128:131], a[56:59], v[38:41]// 00000000B418: D3B50026 1C9A7180
	v_mfma_f32_16x16x32_bf16 v[38:41], a[132:135], a[60:63], v[38:41]// 00000000B420: D3B50026 1C9A7984
	v_mfma_f32_16x16x32_bf16 v[38:41], a[136:139], a[64:67], v[38:41]// 00000000B428: D3B50026 1C9A8188
	v_mfma_f32_16x16x32_bf16 v[38:41], a[140:143], a[68:71], v[38:41]// 00000000B430: D3B50026 1C9A898C
	s_nop 8                                                    // 00000000B438: BF800008
	s_and_b32 s56, s48, 0xff                                   // 00000000B43C: 8638FF30 000000FF
	v_mov_b32_e32 v29, s56                                     // 00000000B444: 7E3A0238
	v_lshrrev_b32_e32 v18, 4, v0                               // 00000000B448: 20240084
	v_mul_i32_i24_e32 v18, 4, v18                              // 00000000B44C: 0C242484
	v_add_u32_e32 v19, 1, v18                                  // 00000000B450: 68262481
	v_add_u32_e32 v20, 2, v18                                  // 00000000B454: 68282482
	v_add_u32_e32 v21, 3, v18                                  // 00000000B458: 682A2483
	v_mov_b32_e32 v28, 0xff800000                              // 00000000B45C: 7E3802FF FF800000
	v_cmp_lt_u32_e64 s[36:37], v18, v29                        // 00000000B464: D0C90024 00023B12
	v_add_u32_e32 v18, 16, v18                                 // 00000000B46C: 68242490
	s_nop 0                                                    // 00000000B470: BF800000
	v_cndmask_b32_e64 v34, v28, v34, s[36:37]                  // 00000000B474: D1000022 0092451C
	v_cmp_lt_u32_e64 s[36:37], v19, v29                        // 00000000B47C: D0C90024 00023B13
	v_add_u32_e32 v19, 16, v19                                 // 00000000B484: 68262690
	s_nop 0                                                    // 00000000B488: BF800000
	v_cndmask_b32_e64 v35, v28, v35, s[36:37]                  // 00000000B48C: D1000023 0092471C
	v_cmp_lt_u32_e64 s[36:37], v20, v29                        // 00000000B494: D0C90024 00023B14
	v_add_u32_e32 v20, 16, v20                                 // 00000000B49C: 68282890
	s_nop 0                                                    // 00000000B4A0: BF800000
	v_cndmask_b32_e64 v36, v28, v36, s[36:37]                  // 00000000B4A4: D1000024 0092491C
	v_cmp_lt_u32_e64 s[36:37], v21, v29                        // 00000000B4AC: D0C90024 00023B15
	v_add_u32_e32 v21, 16, v21                                 // 00000000B4B4: 682A2A90
	s_nop 0                                                    // 00000000B4B8: BF800000
	v_cndmask_b32_e64 v37, v28, v37, s[36:37]                  // 00000000B4BC: D1000025 00924B1C
	v_cmp_lt_u32_e64 s[36:37], v18, v29                        // 00000000B4C4: D0C90024 00023B12
	v_add_u32_e32 v18, 16, v18                                 // 00000000B4CC: 68242490
	s_nop 0                                                    // 00000000B4D0: BF800000
	v_cndmask_b32_e64 v38, v28, v38, s[36:37]                  // 00000000B4D4: D1000026 00924D1C
	v_cmp_lt_u32_e64 s[36:37], v19, v29                        // 00000000B4DC: D0C90024 00023B13
	v_add_u32_e32 v19, 16, v19                                 // 00000000B4E4: 68262690
	s_nop 0                                                    // 00000000B4E8: BF800000
	v_cndmask_b32_e64 v39, v28, v39, s[36:37]                  // 00000000B4EC: D1000027 00924F1C
	v_cmp_lt_u32_e64 s[36:37], v20, v29                        // 00000000B4F4: D0C90024 00023B14
	v_add_u32_e32 v20, 16, v20                                 // 00000000B4FC: 68282890
	s_nop 0                                                    // 00000000B500: BF800000
	v_cndmask_b32_e64 v40, v28, v40, s[36:37]                  // 00000000B504: D1000028 0092511C
	v_cmp_lt_u32_e64 s[36:37], v21, v29                        // 00000000B50C: D0C90024 00023B15
	v_add_u32_e32 v21, 16, v21                                 // 00000000B514: 682A2A90
	s_nop 0                                                    // 00000000B518: BF800000
	v_cndmask_b32_e64 v41, v28, v41, s[36:37]                  // 00000000B51C: D1000029 0092531C
	s_cmp_le_i32 s83, s82                                      // 00000000B524: BF055253
	s_cbranch_scc1 label_9124                                  // 00000000B528: BF85003E
	v_mov_b32_e32 v28, s82                                     // 00000000B52C: 7E380252
	s_lshl_b32 s56, s2, 1                                      // 00000000B530: 8E388102
	s_lshr_b32 s57, s7, 1                                      // 00000000B534: 8F398107
	s_add_u32 s56, s56, s57                                    // 00000000B538: 80383938
	v_add_u32_e32 v28, s56, v28                                // 00000000B53C: 68383838
	s_sub_u32 s56, s83, 31                                     // 00000000B540: 80B89F53
	v_lshrrev_b32_e32 v18, 4, v0                               // 00000000B544: 20240084
	v_mul_i32_i24_e32 v18, 4, v18                              // 00000000B548: 0C242484
	v_add_u32_e32 v18, s56, v18                                // 00000000B54C: 68242438
	v_add_u32_e32 v19, 1, v18                                  // 00000000B550: 68262481
	v_add_u32_e32 v20, 2, v18                                  // 00000000B554: 68282482
	v_add_u32_e32 v21, 3, v18                                  // 00000000B558: 682A2483
	v_mov_b32_e32 v29, 0xff800000                              // 00000000B55C: 7E3A02FF FF800000
	v_cmp_le_u32_e64 s[36:37], v18, v28                        // 00000000B564: D0CB0024 00023912
	v_add_u32_e32 v18, 16, v18                                 // 00000000B56C: 68242490
	s_nop 0                                                    // 00000000B570: BF800000
	v_cndmask_b32_e64 v34, v29, v34, s[36:37]                  // 00000000B574: D1000022 0092451D
	v_cmp_le_u32_e64 s[36:37], v19, v28                        // 00000000B57C: D0CB0024 00023913
	v_add_u32_e32 v19, 16, v19                                 // 00000000B584: 68262690
	s_nop 0                                                    // 00000000B588: BF800000
	v_cndmask_b32_e64 v35, v29, v35, s[36:37]                  // 00000000B58C: D1000023 0092471D
	v_cmp_le_u32_e64 s[36:37], v20, v28                        // 00000000B594: D0CB0024 00023914
	v_add_u32_e32 v20, 16, v20                                 // 00000000B59C: 68282890
	s_nop 0                                                    // 00000000B5A0: BF800000
	v_cndmask_b32_e64 v36, v29, v36, s[36:37]                  // 00000000B5A4: D1000024 0092491D
	v_cmp_le_u32_e64 s[36:37], v21, v28                        // 00000000B5AC: D0CB0024 00023915
	v_add_u32_e32 v21, 16, v21                                 // 00000000B5B4: 682A2A90
	s_nop 0                                                    // 00000000B5B8: BF800000
	v_cndmask_b32_e64 v37, v29, v37, s[36:37]                  // 00000000B5BC: D1000025 00924B1D
	v_cmp_le_u32_e64 s[36:37], v18, v28                        // 00000000B5C4: D0CB0024 00023912
	v_add_u32_e32 v18, 16, v18                                 // 00000000B5CC: 68242490
	s_nop 0                                                    // 00000000B5D0: BF800000
	v_cndmask_b32_e64 v38, v29, v38, s[36:37]                  // 00000000B5D4: D1000026 00924D1D
	v_cmp_le_u32_e64 s[36:37], v19, v28                        // 00000000B5DC: D0CB0024 00023913
	v_add_u32_e32 v19, 16, v19                                 // 00000000B5E4: 68262690
	s_nop 0                                                    // 00000000B5E8: BF800000
	v_cndmask_b32_e64 v39, v29, v39, s[36:37]                  // 00000000B5EC: D1000027 00924F1D
	v_cmp_le_u32_e64 s[36:37], v20, v28                        // 00000000B5F4: D0CB0024 00023914
	v_add_u32_e32 v20, 16, v20                                 // 00000000B5FC: 68282890
	s_nop 0                                                    // 00000000B600: BF800000
	v_cndmask_b32_e64 v40, v29, v40, s[36:37]                  // 00000000B604: D1000028 0092511D
	v_cmp_le_u32_e64 s[36:37], v21, v28                        // 00000000B60C: D0CB0024 00023915
	v_add_u32_e32 v21, 16, v21                                 // 00000000B614: 682A2A90
	s_nop 0                                                    // 00000000B618: BF800000
	v_cndmask_b32_e64 v41, v29, v41, s[36:37]                  // 00000000B61C: D1000029 0092531D

000000000000b624 <label_9124>:
	s_add_u32 s83, s84, s83                                    // 00000000B624: 80535354
	s_nop 2                                                    // 00000000B628: BF800002
	v_mov_b32_e32 v29, v34                                     // 00000000B62C: 7E3A0322
	v_max3_f32 v29, v34, v35, v29                              // 00000000B630: D1D3001D 04764722
	v_max3_f32 v29, v36, v37, v29                              // 00000000B638: D1D3001D 04764B24
	v_max3_f32 v29, v38, v39, v29                              // 00000000B640: D1D3001D 04764F26
	v_max3_f32 v29, v40, v41, v29                              // 00000000B648: D1D3001D 04765328
	v_mov_b32_e32 v28, v29                                     // 00000000B650: 7E38031D
	v_mov_b32_e32 v29, v29                                     // 00000000B654: 7E3A031D
	s_nop 1                                                    // 00000000B658: BF800001
	v_permlane16_swap_b32_e32 v28, v29                         // 00000000B65C: 7E38B31D
	v_mov_b32_e32 v31, v28                                     // 00000000B660: 7E3E031C
	v_mov_b32_e32 v30, v29                                     // 00000000B664: 7E3C031D
	s_nop 1                                                    // 00000000B668: BF800001
	v_permlane32_swap_b32_e32 v28, v29                         // 00000000B66C: 7E38B51D
	v_permlane32_swap_b32_e32 v30, v31                         // 00000000B670: 7E3CB51F
	v_max3_f32 v29, v28, v29, v29                              // 00000000B674: D1D3001D 04763B1C
	v_max3_f32 v29, v30, v31, v29                              // 00000000B67C: D1D3001D 04763F1E
	v_mov_b32_e32 v28, 0xff800000                              // 00000000B684: 7E3802FF FF800000
	v_cmp_eq_u32_e64 s[36:37], v28, v2                         // 00000000B68C: D0CA0024 0002051C
	v_max_f32_e32 v29, v29, v2                                 // 00000000B694: 163A051D
	v_sub_f32_e32 v16, v2, v29                                 // 00000000B698: 04203B02
	v_cndmask_b32_e64 v16, v16, 0, s[36:37]                    // 00000000B69C: D1000010 00910110
	v_mov_b32_e32 v2, v29                                      // 00000000B6A4: 7E04031D
	v_mul_f32_e32 v29, s5, v29                                 // 00000000B6A8: 0A3A3A05
	v_mul_f32_e32 v16, s5, v16                                 // 00000000B6AC: 0A202005
	v_exp_f32_e32 v16, v16                                     // 00000000B6B0: 7E204110
	v_fma_f32 v34, v34, s5, -v29                               // 00000000B6B4: D1CB0022 84740B22
	v_fma_f32 v35, v35, s5, -v29                               // 00000000B6BC: D1CB0023 84740B23
	v_fma_f32 v36, v36, s5, -v29                               // 00000000B6C4: D1CB0024 84740B24
	v_fma_f32 v37, v37, s5, -v29                               // 00000000B6CC: D1CB0025 84740B25
	v_fma_f32 v38, v38, s5, -v29                               // 00000000B6D4: D1CB0026 84740B26
	v_fma_f32 v39, v39, s5, -v29                               // 00000000B6DC: D1CB0027 84740B27
	v_fma_f32 v40, v40, s5, -v29                               // 00000000B6E4: D1CB0028 84740B28
	v_fma_f32 v41, v41, s5, -v29                               // 00000000B6EC: D1CB0029 84740B29
	v_exp_f32_e32 v34, v34                                     // 00000000B6F4: 7E444122
	v_exp_f32_e32 v35, v35                                     // 00000000B6F8: 7E464123
	v_exp_f32_e32 v36, v36                                     // 00000000B6FC: 7E484124
	v_exp_f32_e32 v37, v37                                     // 00000000B700: 7E4A4125
	v_exp_f32_e32 v38, v38                                     // 00000000B704: 7E4C4126
	v_exp_f32_e32 v39, v39                                     // 00000000B708: 7E4E4127
	v_exp_f32_e32 v40, v40                                     // 00000000B70C: 7E504128
	v_exp_f32_e32 v41, v41                                     // 00000000B710: 7E524129
	v_mul_f32_e32 v4, v16, v4                                  // 00000000B714: 0A080910
	v_mov_b32_e32 v28, v34                                     // 00000000B718: 7E380322
	v_add_f32_e32 v28, v35, v28                                // 00000000B71C: 02383923
	v_add_f32_e32 v28, v36, v28                                // 00000000B720: 02383924
	v_add_f32_e32 v28, v37, v28                                // 00000000B724: 02383925
	v_add_f32_e32 v28, v38, v28                                // 00000000B728: 02383926
	v_add_f32_e32 v28, v39, v28                                // 00000000B72C: 02383927
	v_add_f32_e32 v28, v40, v28                                // 00000000B730: 02383928
	v_add_f32_e32 v28, v41, v28                                // 00000000B734: 02383929
	v_add_f32_e32 v4, v28, v4                                  // 00000000B738: 0208091C
	v_cvt_pk_bf16_f32 v34, v34, v35                            // 00000000B73C: D2680022 00024722
	v_cvt_pk_bf16_f32 v35, v36, v37                            // 00000000B744: D2680023 00024B24
	v_cvt_pk_bf16_f32 v36, v38, v39                            // 00000000B74C: D2680024 00024F26
	v_cvt_pk_bf16_f32 v37, v40, v41                            // 00000000B754: D2680025 00025328
	s_nop 0                                                    // 00000000B75C: BF800000
	v_permlane32_swap_b32_e32 v34, v36                         // 00000000B760: 7E44B524
	v_permlane32_swap_b32_e32 v35, v37                         // 00000000B764: 7E46B525
	s_nop 0                                                    // 00000000B768: BF800000
	v_permlane16_swap_b32_e32 v34, v36                         // 00000000B76C: 7E44B324
	v_permlane16_swap_b32_e32 v35, v37                         // 00000000B770: 7E46B325
	v_mov_b32_e32 v30, v16                                     // 00000000B774: 7E3C0310
	v_mov_b32_e32 v31, v16                                     // 00000000B778: 7E3E0310
	v_pk_mul_f32 v[50:51], v[30:31], v[50:51]                  // 00000000B77C: D3B14032 1802651E
	v_pk_mul_f32 v[52:53], v[30:31], v[52:53]                  // 00000000B784: D3B14034 1802691E
	v_pk_mul_f32 v[54:55], v[30:31], v[54:55]                  // 00000000B78C: D3B14036 18026D1E
	v_pk_mul_f32 v[56:57], v[30:31], v[56:57]                  // 00000000B794: D3B14038 1802711E
	v_pk_mul_f32 v[58:59], v[30:31], v[58:59]                  // 00000000B79C: D3B1403A 1802751E
	v_pk_mul_f32 v[60:61], v[30:31], v[60:61]                  // 00000000B7A4: D3B1403C 1802791E
	v_pk_mul_f32 v[62:63], v[30:31], v[62:63]                  // 00000000B7AC: D3B1403E 18027D1E
	v_pk_mul_f32 v[64:65], v[30:31], v[64:65]                  // 00000000B7B4: D3B14040 1802811E
	v_pk_mul_f32 v[66:67], v[30:31], v[66:67]                  // 00000000B7BC: D3B14042 1802851E
	v_pk_mul_f32 v[68:69], v[30:31], v[68:69]                  // 00000000B7C4: D3B14044 1802891E
	v_pk_mul_f32 v[70:71], v[30:31], v[70:71]                  // 00000000B7CC: D3B14046 18028D1E
	v_pk_mul_f32 v[72:73], v[30:31], v[72:73]                  // 00000000B7D4: D3B14048 1802911E
	v_pk_mul_f32 v[74:75], v[30:31], v[74:75]                  // 00000000B7DC: D3B1404A 1802951E
	v_pk_mul_f32 v[76:77], v[30:31], v[76:77]                  // 00000000B7E4: D3B1404C 1802991E
	v_pk_mul_f32 v[78:79], v[30:31], v[78:79]                  // 00000000B7EC: D3B1404E 18029D1E
	v_pk_mul_f32 v[80:81], v[30:31], v[80:81]                  // 00000000B7F4: D3B14050 1802A11E
	v_pk_mul_f32 v[82:83], v[30:31], v[82:83]                  // 00000000B7FC: D3B14052 1802A51E
	v_pk_mul_f32 v[84:85], v[30:31], v[84:85]                  // 00000000B804: D3B14054 1802A91E
	v_pk_mul_f32 v[86:87], v[30:31], v[86:87]                  // 00000000B80C: D3B14056 1802AD1E
	v_pk_mul_f32 v[88:89], v[30:31], v[88:89]                  // 00000000B814: D3B14058 1802B11E
	v_pk_mul_f32 v[90:91], v[30:31], v[90:91]                  // 00000000B81C: D3B1405A 1802B51E
	v_pk_mul_f32 v[92:93], v[30:31], v[92:93]                  // 00000000B824: D3B1405C 1802B91E
	v_pk_mul_f32 v[94:95], v[30:31], v[94:95]                  // 00000000B82C: D3B1405E 1802BD1E
	v_pk_mul_f32 v[96:97], v[30:31], v[96:97]                  // 00000000B834: D3B14060 1802C11E
	v_pk_mul_f32 v[98:99], v[30:31], v[98:99]                  // 00000000B83C: D3B14062 1802C51E
	v_pk_mul_f32 v[100:101], v[30:31], v[100:101]              // 00000000B844: D3B14064 1802C91E
	v_pk_mul_f32 v[102:103], v[30:31], v[102:103]              // 00000000B84C: D3B14066 1802CD1E
	v_pk_mul_f32 v[104:105], v[30:31], v[104:105]              // 00000000B854: D3B14068 1802D11E
	v_pk_mul_f32 v[106:107], v[30:31], v[106:107]              // 00000000B85C: D3B1406A 1802D51E
	v_pk_mul_f32 v[108:109], v[30:31], v[108:109]              // 00000000B864: D3B1406C 1802D91E
	v_pk_mul_f32 v[110:111], v[30:31], v[110:111]              // 00000000B86C: D3B1406E 1802DD1E
	v_pk_mul_f32 v[112:113], v[30:31], v[112:113]              // 00000000B874: D3B14070 1802E11E
	v_pk_mul_f32 v[114:115], v[30:31], v[114:115]              // 00000000B87C: D3B14072 1802E51E
	v_pk_mul_f32 v[116:117], v[30:31], v[116:117]              // 00000000B884: D3B14074 1802E91E
	v_pk_mul_f32 v[118:119], v[30:31], v[118:119]              // 00000000B88C: D3B14076 1802ED1E
	v_pk_mul_f32 v[120:121], v[30:31], v[120:121]              // 00000000B894: D3B14078 1802F11E
	v_pk_mul_f32 v[122:123], v[30:31], v[122:123]              // 00000000B89C: D3B1407A 1802F51E
	v_pk_mul_f32 v[124:125], v[30:31], v[124:125]              // 00000000B8A4: D3B1407C 1802F91E
	v_pk_mul_f32 v[126:127], v[30:31], v[126:127]              // 00000000B8AC: D3B1407E 1802FD1E
	v_pk_mul_f32 v[128:129], v[30:31], v[128:129]              // 00000000B8B4: D3B14080 1803011E
	v_pk_mul_f32 v[130:131], v[30:31], v[130:131]              // 00000000B8BC: D3B14082 1803051E
	v_pk_mul_f32 v[132:133], v[30:31], v[132:133]              // 00000000B8C4: D3B14084 1803091E
	v_pk_mul_f32 v[134:135], v[30:31], v[134:135]              // 00000000B8CC: D3B14086 18030D1E
	v_pk_mul_f32 v[136:137], v[30:31], v[136:137]              // 00000000B8D4: D3B14088 1803111E
	v_pk_mul_f32 v[138:139], v[30:31], v[138:139]              // 00000000B8DC: D3B1408A 1803151E
	v_pk_mul_f32 v[140:141], v[30:31], v[140:141]              // 00000000B8E4: D3B1408C 1803191E
	v_pk_mul_f32 v[142:143], v[30:31], v[142:143]              // 00000000B8EC: D3B1408E 18031D1E
	v_pk_mul_f32 v[144:145], v[30:31], v[144:145]              // 00000000B8F4: D3B14090 1803211E
	v_pk_mul_f32 v[146:147], v[30:31], v[146:147]              // 00000000B8FC: D3B14092 1803251E
	v_pk_mul_f32 v[148:149], v[30:31], v[148:149]              // 00000000B904: D3B14094 1803291E
	v_pk_mul_f32 v[150:151], v[30:31], v[150:151]              // 00000000B90C: D3B14096 18032D1E
	v_pk_mul_f32 v[152:153], v[30:31], v[152:153]              // 00000000B914: D3B14098 1803311E
	v_pk_mul_f32 v[154:155], v[30:31], v[154:155]              // 00000000B91C: D3B1409A 1803351E
	v_pk_mul_f32 v[156:157], v[30:31], v[156:157]              // 00000000B924: D3B1409C 1803391E
	v_pk_mul_f32 v[158:159], v[30:31], v[158:159]              // 00000000B92C: D3B1409E 18033D1E
	v_pk_mul_f32 v[160:161], v[30:31], v[160:161]              // 00000000B934: D3B140A0 1803411E
	v_pk_mul_f32 v[162:163], v[30:31], v[162:163]              // 00000000B93C: D3B140A2 1803451E
	v_pk_mul_f32 v[164:165], v[30:31], v[164:165]              // 00000000B944: D3B140A4 1803491E
	v_pk_mul_f32 v[166:167], v[30:31], v[166:167]              // 00000000B94C: D3B140A6 18034D1E
	v_pk_mul_f32 v[168:169], v[30:31], v[168:169]              // 00000000B954: D3B140A8 1803511E
	v_pk_mul_f32 v[170:171], v[30:31], v[170:171]              // 00000000B95C: D3B140AA 1803551E
	v_pk_mul_f32 v[172:173], v[30:31], v[172:173]              // 00000000B964: D3B140AC 1803591E
	v_pk_mul_f32 v[174:175], v[30:31], v[174:175]              // 00000000B96C: D3B140AE 18035D1E
	v_pk_mul_f32 v[176:177], v[30:31], v[176:177]              // 00000000B974: D3B140B0 1803611E
	s_waitcnt lgkmcnt(0)                                       // 00000000B97C: BF8CC07F
	v_mfma_f32_16x16x32_bf16 v[50:53], a[144:147], v[34:37], v[50:53]// 00000000B980: D3B50032 0CCA4590
	v_mfma_f32_16x16x32_bf16 v[54:57], a[148:151], v[34:37], v[54:57]// 00000000B988: D3B50036 0CDA4594
	v_mfma_f32_16x16x32_bf16 v[58:61], a[152:155], v[34:37], v[58:61]// 00000000B990: D3B5003A 0CEA4598
	v_mfma_f32_16x16x32_bf16 v[62:65], a[156:159], v[34:37], v[62:65]// 00000000B998: D3B5003E 0CFA459C
	v_mfma_f32_16x16x32_bf16 v[66:69], a[160:163], v[34:37], v[66:69]// 00000000B9A0: D3B50042 0D0A45A0
	v_mfma_f32_16x16x32_bf16 v[70:73], a[164:167], v[34:37], v[70:73]// 00000000B9A8: D3B50046 0D1A45A4
	v_mfma_f32_16x16x32_bf16 v[74:77], a[168:171], v[34:37], v[74:77]// 00000000B9B0: D3B5004A 0D2A45A8
	v_mfma_f32_16x16x32_bf16 v[78:81], a[172:175], v[34:37], v[78:81]// 00000000B9B8: D3B5004E 0D3A45AC
	v_mfma_f32_16x16x32_bf16 v[82:85], a[176:179], v[34:37], v[82:85]// 00000000B9C0: D3B50052 0D4A45B0
	v_mfma_f32_16x16x32_bf16 v[86:89], a[180:183], v[34:37], v[86:89]// 00000000B9C8: D3B50056 0D5A45B4
	v_mfma_f32_16x16x32_bf16 v[90:93], a[184:187], v[34:37], v[90:93]// 00000000B9D0: D3B5005A 0D6A45B8
	ds_read_b64_tr_b16 a[144:145], v8 offset:8192              // 00000000B9D8: DBC62000 90000008
	ds_read_b64_tr_b16 a[146:147], v8 offset:8448              // 00000000B9E0: DBC62100 92000008
	ds_read_b64_tr_b16 a[148:149], v9 offset:8192              // 00000000B9E8: DBC62000 94000009
	ds_read_b64_tr_b16 a[150:151], v9 offset:8448              // 00000000B9F0: DBC62100 96000009
	v_mfma_f32_16x16x32_bf16 v[94:97], a[188:191], v[34:37], v[94:97]// 00000000B9F8: D3B5005E 0D7A45BC
	ds_read_b64_tr_b16 a[152:153], v8 offset:9216              // 00000000BA00: DBC62400 98000008
	ds_read_b64_tr_b16 a[154:155], v8 offset:9472              // 00000000BA08: DBC62500 9A000008
	ds_read_b64_tr_b16 a[156:157], v9 offset:9216              // 00000000BA10: DBC62400 9C000009
	ds_read_b64_tr_b16 a[158:159], v9 offset:9472              // 00000000BA18: DBC62500 9E000009
	v_mfma_f32_16x16x32_bf16 v[98:101], a[192:195], v[34:37], v[98:101]// 00000000BA20: D3B50062 0D8A45C0
	ds_read_b64_tr_b16 a[160:161], v8 offset:10240             // 00000000BA28: DBC62800 A0000008
	ds_read_b64_tr_b16 a[162:163], v8 offset:10496             // 00000000BA30: DBC62900 A2000008
	ds_read_b64_tr_b16 a[164:165], v9 offset:10240             // 00000000BA38: DBC62800 A4000009
	ds_read_b64_tr_b16 a[166:167], v9 offset:10496             // 00000000BA40: DBC62900 A6000009
	v_mfma_f32_16x16x32_bf16 v[102:105], a[196:199], v[34:37], v[102:105]// 00000000BA48: D3B50066 0D9A45C4
	ds_read_b64_tr_b16 a[168:169], v8 offset:11264             // 00000000BA50: DBC62C00 A8000008
	ds_read_b64_tr_b16 a[170:171], v8 offset:11520             // 00000000BA58: DBC62D00 AA000008
	ds_read_b64_tr_b16 a[172:173], v9 offset:11264             // 00000000BA60: DBC62C00 AC000009
	ds_read_b64_tr_b16 a[174:175], v9 offset:11520             // 00000000BA68: DBC62D00 AE000009
	v_mfma_f32_16x16x32_bf16 v[106:109], a[200:203], v[34:37], v[106:109]// 00000000BA70: D3B5006A 0DAA45C8
	ds_read_b64_tr_b16 a[176:177], v8 offset:12288             // 00000000BA78: DBC63000 B0000008
	ds_read_b64_tr_b16 a[178:179], v8 offset:12544             // 00000000BA80: DBC63100 B2000008
	ds_read_b64_tr_b16 a[180:181], v9 offset:12288             // 00000000BA88: DBC63000 B4000009
	ds_read_b64_tr_b16 a[182:183], v9 offset:12544             // 00000000BA90: DBC63100 B6000009
	v_mfma_f32_16x16x32_bf16 v[110:113], a[204:207], v[34:37], v[110:113]// 00000000BA98: D3B5006E 0DBA45CC
	ds_read_b64_tr_b16 a[184:185], v8 offset:13312             // 00000000BAA0: DBC63400 B8000008
	ds_read_b64_tr_b16 a[186:187], v8 offset:13568             // 00000000BAA8: DBC63500 BA000008
	ds_read_b64_tr_b16 a[188:189], v9 offset:13312             // 00000000BAB0: DBC63400 BC000009
	ds_read_b64_tr_b16 a[190:191], v9 offset:13568             // 00000000BAB8: DBC63500 BE000009
	ds_read_b64_tr_b16 a[192:193], v8 offset:14336             // 00000000BAC0: DBC63800 C0000008
	ds_read_b64_tr_b16 a[194:195], v8 offset:14592             // 00000000BAC8: DBC63900 C2000008
	ds_read_b64_tr_b16 a[196:197], v9 offset:14336             // 00000000BAD0: DBC63800 C4000009
	ds_read_b64_tr_b16 a[198:199], v9 offset:14592             // 00000000BAD8: DBC63900 C6000009
	ds_read_b64_tr_b16 a[200:201], v8 offset:15360             // 00000000BAE0: DBC63C00 C8000008
	ds_read_b64_tr_b16 a[202:203], v8 offset:15616             // 00000000BAE8: DBC63D00 CA000008
	ds_read_b64_tr_b16 a[204:205], v9 offset:15360             // 00000000BAF0: DBC63C00 CC000009
	ds_read_b64_tr_b16 a[206:207], v9 offset:15616             // 00000000BAF8: DBC63D00 CE000009
	s_waitcnt lgkmcnt(0)                                       // 00000000BB00: BF8CC07F
	v_mfma_f32_16x16x32_bf16 v[114:117], a[144:147], v[34:37], v[114:117]// 00000000BB04: D3B50072 0DCA4590
	v_mfma_f32_16x16x32_bf16 v[118:121], a[148:151], v[34:37], v[118:121]// 00000000BB0C: D3B50076 0DDA4594
	v_mfma_f32_16x16x32_bf16 v[122:125], a[152:155], v[34:37], v[122:125]// 00000000BB14: D3B5007A 0DEA4598
	v_mfma_f32_16x16x32_bf16 v[126:129], a[156:159], v[34:37], v[126:129]// 00000000BB1C: D3B5007E 0DFA459C
	v_mfma_f32_16x16x32_bf16 v[130:133], a[160:163], v[34:37], v[130:133]// 00000000BB24: D3B50082 0E0A45A0
	v_mfma_f32_16x16x32_bf16 v[134:137], a[164:167], v[34:37], v[134:137]// 00000000BB2C: D3B50086 0E1A45A4
	v_mfma_f32_16x16x32_bf16 v[138:141], a[168:171], v[34:37], v[138:141]// 00000000BB34: D3B5008A 0E2A45A8
	v_mfma_f32_16x16x32_bf16 v[142:145], a[172:175], v[34:37], v[142:145]// 00000000BB3C: D3B5008E 0E3A45AC
	v_mfma_f32_16x16x32_bf16 v[146:149], a[176:179], v[34:37], v[146:149]// 00000000BB44: D3B50092 0E4A45B0
	v_mfma_f32_16x16x32_bf16 v[150:153], a[180:183], v[34:37], v[150:153]// 00000000BB4C: D3B50096 0E5A45B4
	v_mfma_f32_16x16x32_bf16 v[154:157], a[184:187], v[34:37], v[154:157]// 00000000BB54: D3B5009A 0E6A45B8
	v_mfma_f32_16x16x32_bf16 v[158:161], a[188:191], v[34:37], v[158:161]// 00000000BB5C: D3B5009E 0E7A45BC
	v_mfma_f32_16x16x32_bf16 v[162:165], a[192:195], v[34:37], v[162:165]// 00000000BB64: D3B500A2 0E8A45C0
	v_mfma_f32_16x16x32_bf16 v[166:169], a[196:199], v[34:37], v[166:169]// 00000000BB6C: D3B500A6 0E9A45C4
	v_mfma_f32_16x16x32_bf16 v[170:173], a[200:203], v[34:37], v[170:173]// 00000000BB74: D3B500AA 0EAA45C8
	v_mfma_f32_16x16x32_bf16 v[174:177], a[204:207], v[34:37], v[174:177]// 00000000BB7C: D3B500AE 0EBA45CC
	s_nop 8                                                    // 00000000BB84: BF800008
	s_branch label_B6B8                                        // 00000000BB88: BF820789

000000000000bb8c <label_968C>:
	s_waitcnt lgkmcnt(0)                                       // 00000000BB8C: BF8CC07F
	v_mfma_f32_16x16x32_bf16 v[42:45], a[72:75], a[0:3], 0     // 00000000BB90: D3B5002A 1A020148
	v_mfma_f32_16x16x32_bf16 v[42:45], a[76:79], a[4:7], v[42:45]// 00000000BB98: D3B5002A 1CAA094C
	v_mfma_f32_16x16x32_bf16 v[42:45], a[80:83], a[8:11], v[42:45]// 00000000BBA0: D3B5002A 1CAA1150
	v_mfma_f32_16x16x32_bf16 v[42:45], a[84:87], a[12:15], v[42:45]// 00000000BBA8: D3B5002A 1CAA1954
	v_mfma_f32_16x16x32_bf16 v[42:45], a[88:91], a[16:19], v[42:45]// 00000000BBB0: D3B5002A 1CAA2158
	v_mfma_f32_16x16x32_bf16 v[42:45], a[92:95], a[20:23], v[42:45]// 00000000BBB8: D3B5002A 1CAA295C
	v_mfma_f32_16x16x32_bf16 v[42:45], a[96:99], a[24:27], v[42:45]// 00000000BBC0: D3B5002A 1CAA3160
	v_mfma_f32_16x16x32_bf16 v[42:45], a[100:103], a[28:31], v[42:45]// 00000000BBC8: D3B5002A 1CAA3964
	ds_read_b128 a[72:75], v19 offset:18432                    // 00000000BBD0: DBFE4800 48000013
	ds_read_b128 a[76:79], v19 offset:19456                    // 00000000BBD8: DBFE4C00 4C000013
	v_mfma_f32_16x16x32_bf16 v[42:45], a[104:107], a[32:35], v[42:45]// 00000000BBE0: D3B5002A 1CAA4168
	v_mfma_f32_16x16x32_bf16 v[42:45], a[108:111], a[36:39], v[42:45]// 00000000BBE8: D3B5002A 1CAA496C
	ds_read_b128 a[80:83], v19 offset:20480                    // 00000000BBF0: DBFE5000 50000013
	ds_read_b128 a[84:87], v19 offset:21504                    // 00000000BBF8: DBFE5400 54000013
	v_mfma_f32_16x16x32_bf16 v[42:45], a[112:115], a[40:43], v[42:45]// 00000000BC00: D3B5002A 1CAA5170
	v_mfma_f32_16x16x32_bf16 v[42:45], a[116:119], a[44:47], v[42:45]// 00000000BC08: D3B5002A 1CAA5974
	ds_read_b128 a[88:91], v19 offset:22528                    // 00000000BC10: DBFE5800 58000013
	ds_read_b128 a[92:95], v19 offset:23552                    // 00000000BC18: DBFE5C00 5C000013
	v_mfma_f32_16x16x32_bf16 v[42:45], a[120:123], a[48:51], v[42:45]// 00000000BC20: D3B5002A 1CAA6178
	v_mfma_f32_16x16x32_bf16 v[42:45], a[124:127], a[52:55], v[42:45]// 00000000BC28: D3B5002A 1CAA697C
	ds_read_b128 a[96:99], v19 offset:24576                    // 00000000BC30: DBFE6000 60000013
	ds_read_b128 a[100:103], v19 offset:25600                  // 00000000BC38: DBFE6400 64000013
	v_mfma_f32_16x16x32_bf16 v[42:45], a[128:131], a[56:59], v[42:45]// 00000000BC40: D3B5002A 1CAA7180
	v_mfma_f32_16x16x32_bf16 v[42:45], a[132:135], a[60:63], v[42:45]// 00000000BC48: D3B5002A 1CAA7984
	ds_read_b128 a[104:107], v19 offset:26624                  // 00000000BC50: DBFE6800 68000013
	ds_read_b128 a[108:111], v19 offset:27648                  // 00000000BC58: DBFE6C00 6C000013
	v_mfma_f32_16x16x32_bf16 v[42:45], a[136:139], a[64:67], v[42:45]// 00000000BC60: D3B5002A 1CAA8188
	v_mfma_f32_16x16x32_bf16 v[42:45], a[140:143], a[68:71], v[42:45]// 00000000BC68: D3B5002A 1CAA898C
	ds_read_b128 a[112:115], v19 offset:28672                  // 00000000BC70: DBFE7000 70000013
	ds_read_b128 a[116:119], v19 offset:29696                  // 00000000BC78: DBFE7400 74000013
	ds_read_b128 a[120:123], v19 offset:30720                  // 00000000BC80: DBFE7800 78000013
	ds_read_b128 a[124:127], v19 offset:31744                  // 00000000BC88: DBFE7C00 7C000013
	ds_read_b128 a[128:131], v19 offset:32768                  // 00000000BC90: DBFE8000 80000013
	ds_read_b128 a[132:135], v19 offset:33792                  // 00000000BC98: DBFE8400 84000013
	ds_read_b128 a[136:139], v19 offset:34816                  // 00000000BCA0: DBFE8800 88000013
	ds_read_b128 a[140:143], v19 offset:35840                  // 00000000BCA8: DBFE8C00 8C000013
	s_waitcnt lgkmcnt(0)                                       // 00000000BCB0: BF8CC07F
	v_mfma_f32_16x16x32_bf16 v[46:49], a[72:75], a[0:3], 0     // 00000000BCB4: D3B5002E 1A020148
	ds_read_b64_tr_b16 a[144:145], v10                         // 00000000BCBC: DBC60000 9000000A
	ds_read_b64_tr_b16 a[146:147], v10 offset:256              // 00000000BCC4: DBC60100 9200000A
	ds_read_b64_tr_b16 a[148:149], v11                         // 00000000BCCC: DBC60000 9400000B
	ds_read_b64_tr_b16 a[150:151], v11 offset:256              // 00000000BCD4: DBC60100 9600000B
	v_mfma_f32_16x16x32_bf16 v[46:49], a[76:79], a[4:7], v[46:49]// 00000000BCDC: D3B5002E 1CBA094C
	ds_read_b64_tr_b16 a[152:153], v10 offset:1024             // 00000000BCE4: DBC60400 9800000A
	ds_read_b64_tr_b16 a[154:155], v10 offset:1280             // 00000000BCEC: DBC60500 9A00000A
	ds_read_b64_tr_b16 a[156:157], v11 offset:1024             // 00000000BCF4: DBC60400 9C00000B
	ds_read_b64_tr_b16 a[158:159], v11 offset:1280             // 00000000BCFC: DBC60500 9E00000B
	v_mfma_f32_16x16x32_bf16 v[46:49], a[80:83], a[8:11], v[46:49]// 00000000BD04: D3B5002E 1CBA1150
	ds_read_b64_tr_b16 a[160:161], v10 offset:2048             // 00000000BD0C: DBC60800 A000000A
	ds_read_b64_tr_b16 a[162:163], v10 offset:2304             // 00000000BD14: DBC60900 A200000A
	ds_read_b64_tr_b16 a[164:165], v11 offset:2048             // 00000000BD1C: DBC60800 A400000B
	ds_read_b64_tr_b16 a[166:167], v11 offset:2304             // 00000000BD24: DBC60900 A600000B
	v_mfma_f32_16x16x32_bf16 v[46:49], a[84:87], a[12:15], v[46:49]// 00000000BD2C: D3B5002E 1CBA1954
	ds_read_b64_tr_b16 a[168:169], v10 offset:3072             // 00000000BD34: DBC60C00 A800000A
	ds_read_b64_tr_b16 a[170:171], v10 offset:3328             // 00000000BD3C: DBC60D00 AA00000A
	ds_read_b64_tr_b16 a[172:173], v11 offset:3072             // 00000000BD44: DBC60C00 AC00000B
	ds_read_b64_tr_b16 a[174:175], v11 offset:3328             // 00000000BD4C: DBC60D00 AE00000B
	v_mfma_f32_16x16x32_bf16 v[46:49], a[88:91], a[16:19], v[46:49]// 00000000BD54: D3B5002E 1CBA2158
	ds_read_b64_tr_b16 a[176:177], v10 offset:4096             // 00000000BD5C: DBC61000 B000000A
	ds_read_b64_tr_b16 a[178:179], v10 offset:4352             // 00000000BD64: DBC61100 B200000A
	ds_read_b64_tr_b16 a[180:181], v11 offset:4096             // 00000000BD6C: DBC61000 B400000B
	ds_read_b64_tr_b16 a[182:183], v11 offset:4352             // 00000000BD74: DBC61100 B600000B
	v_mfma_f32_16x16x32_bf16 v[46:49], a[92:95], a[20:23], v[46:49]// 00000000BD7C: D3B5002E 1CBA295C
	ds_read_b64_tr_b16 a[184:185], v10 offset:5120             // 00000000BD84: DBC61400 B800000A
	ds_read_b64_tr_b16 a[186:187], v10 offset:5376             // 00000000BD8C: DBC61500 BA00000A
	ds_read_b64_tr_b16 a[188:189], v11 offset:5120             // 00000000BD94: DBC61400 BC00000B
	ds_read_b64_tr_b16 a[190:191], v11 offset:5376             // 00000000BD9C: DBC61500 BE00000B
	v_mfma_f32_16x16x32_bf16 v[46:49], a[96:99], a[24:27], v[46:49]// 00000000BDA4: D3B5002E 1CBA3160
	ds_read_b64_tr_b16 a[192:193], v10 offset:6144             // 00000000BDAC: DBC61800 C000000A
	ds_read_b64_tr_b16 a[194:195], v10 offset:6400             // 00000000BDB4: DBC61900 C200000A
	ds_read_b64_tr_b16 a[196:197], v11 offset:6144             // 00000000BDBC: DBC61800 C400000B
	ds_read_b64_tr_b16 a[198:199], v11 offset:6400             // 00000000BDC4: DBC61900 C600000B
	v_mfma_f32_16x16x32_bf16 v[46:49], a[100:103], a[28:31], v[46:49]// 00000000BDCC: D3B5002E 1CBA3964
	ds_read_b64_tr_b16 a[200:201], v10 offset:7168             // 00000000BDD4: DBC61C00 C800000A
	ds_read_b64_tr_b16 a[202:203], v10 offset:7424             // 00000000BDDC: DBC61D00 CA00000A
	ds_read_b64_tr_b16 a[204:205], v11 offset:7168             // 00000000BDE4: DBC61C00 CC00000B
	ds_read_b64_tr_b16 a[206:207], v11 offset:7424             // 00000000BDEC: DBC61D00 CE00000B
	v_mfma_f32_16x16x32_bf16 v[46:49], a[104:107], a[32:35], v[46:49]// 00000000BDF4: D3B5002E 1CBA4168
	v_mfma_f32_16x16x32_bf16 v[46:49], a[108:111], a[36:39], v[46:49]// 00000000BDFC: D3B5002E 1CBA496C
	v_mfma_f32_16x16x32_bf16 v[46:49], a[112:115], a[40:43], v[46:49]// 00000000BE04: D3B5002E 1CBA5170
	v_mfma_f32_16x16x32_bf16 v[46:49], a[116:119], a[44:47], v[46:49]// 00000000BE0C: D3B5002E 1CBA5974
	v_mfma_f32_16x16x32_bf16 v[46:49], a[120:123], a[48:51], v[46:49]// 00000000BE14: D3B5002E 1CBA6178
	v_mfma_f32_16x16x32_bf16 v[46:49], a[124:127], a[52:55], v[46:49]// 00000000BE1C: D3B5002E 1CBA697C
	v_mfma_f32_16x16x32_bf16 v[46:49], a[128:131], a[56:59], v[46:49]// 00000000BE24: D3B5002E 1CBA7180
	v_mfma_f32_16x16x32_bf16 v[46:49], a[132:135], a[60:63], v[46:49]// 00000000BE2C: D3B5002E 1CBA7984
	v_mfma_f32_16x16x32_bf16 v[46:49], a[136:139], a[64:67], v[46:49]// 00000000BE34: D3B5002E 1CBA8188
	v_mfma_f32_16x16x32_bf16 v[46:49], a[140:143], a[68:71], v[46:49]// 00000000BE3C: D3B5002E 1CBA898C
	s_nop 8                                                    // 00000000BE44: BF800008
	s_and_b32 s56, s48, 0xff                                   // 00000000BE48: 8638FF30 000000FF
	v_mov_b32_e32 v29, s56                                     // 00000000BE50: 7E3A0238
	v_lshrrev_b32_e32 v18, 4, v0                               // 00000000BE54: 20240084
	v_mul_i32_i24_e32 v18, 4, v18                              // 00000000BE58: 0C242484
	v_add_u32_e32 v19, 1, v18                                  // 00000000BE5C: 68262481
	v_add_u32_e32 v20, 2, v18                                  // 00000000BE60: 68282482
	v_add_u32_e32 v21, 3, v18                                  // 00000000BE64: 682A2483
	v_mov_b32_e32 v28, 0xff800000                              // 00000000BE68: 7E3802FF FF800000
	v_cmp_lt_u32_e64 s[36:37], v18, v29                        // 00000000BE70: D0C90024 00023B12
	v_add_u32_e32 v18, 16, v18                                 // 00000000BE78: 68242490
	s_nop 0                                                    // 00000000BE7C: BF800000
	v_cndmask_b32_e64 v42, v28, v42, s[36:37]                  // 00000000BE80: D100002A 0092551C
	v_cmp_lt_u32_e64 s[36:37], v19, v29                        // 00000000BE88: D0C90024 00023B13
	v_add_u32_e32 v19, 16, v19                                 // 00000000BE90: 68262690
	s_nop 0                                                    // 00000000BE94: BF800000
	v_cndmask_b32_e64 v43, v28, v43, s[36:37]                  // 00000000BE98: D100002B 0092571C
	v_cmp_lt_u32_e64 s[36:37], v20, v29                        // 00000000BEA0: D0C90024 00023B14
	v_add_u32_e32 v20, 16, v20                                 // 00000000BEA8: 68282890
	s_nop 0                                                    // 00000000BEAC: BF800000
	v_cndmask_b32_e64 v44, v28, v44, s[36:37]                  // 00000000BEB0: D100002C 0092591C
	v_cmp_lt_u32_e64 s[36:37], v21, v29                        // 00000000BEB8: D0C90024 00023B15
	v_add_u32_e32 v21, 16, v21                                 // 00000000BEC0: 682A2A90
	s_nop 0                                                    // 00000000BEC4: BF800000
	v_cndmask_b32_e64 v45, v28, v45, s[36:37]                  // 00000000BEC8: D100002D 00925B1C
	v_cmp_lt_u32_e64 s[36:37], v18, v29                        // 00000000BED0: D0C90024 00023B12
	v_add_u32_e32 v18, 16, v18                                 // 00000000BED8: 68242490
	s_nop 0                                                    // 00000000BEDC: BF800000
	v_cndmask_b32_e64 v46, v28, v46, s[36:37]                  // 00000000BEE0: D100002E 00925D1C
	v_cmp_lt_u32_e64 s[36:37], v19, v29                        // 00000000BEE8: D0C90024 00023B13
	v_add_u32_e32 v19, 16, v19                                 // 00000000BEF0: 68262690
	s_nop 0                                                    // 00000000BEF4: BF800000
	v_cndmask_b32_e64 v47, v28, v47, s[36:37]                  // 00000000BEF8: D100002F 00925F1C
	v_cmp_lt_u32_e64 s[36:37], v20, v29                        // 00000000BF00: D0C90024 00023B14
	v_add_u32_e32 v20, 16, v20                                 // 00000000BF08: 68282890
	s_nop 0                                                    // 00000000BF0C: BF800000
	v_cndmask_b32_e64 v48, v28, v48, s[36:37]                  // 00000000BF10: D1000030 0092611C
	v_cmp_lt_u32_e64 s[36:37], v21, v29                        // 00000000BF18: D0C90024 00023B15
	v_add_u32_e32 v21, 16, v21                                 // 00000000BF20: 682A2A90
	s_nop 0                                                    // 00000000BF24: BF800000
	v_cndmask_b32_e64 v49, v28, v49, s[36:37]                  // 00000000BF28: D1000031 0092631C
	s_cmp_le_i32 s83, s82                                      // 00000000BF30: BF055253
	s_cbranch_scc1 label_9B30                                  // 00000000BF34: BF85003E
	v_mov_b32_e32 v28, s82                                     // 00000000BF38: 7E380252
	s_lshl_b32 s56, s2, 1                                      // 00000000BF3C: 8E388102
	s_lshr_b32 s57, s7, 1                                      // 00000000BF40: 8F398107
	s_add_u32 s56, s56, s57                                    // 00000000BF44: 80383938
	v_add_u32_e32 v28, s56, v28                                // 00000000BF48: 68383838
	s_sub_u32 s56, s83, 31                                     // 00000000BF4C: 80B89F53
	v_lshrrev_b32_e32 v18, 4, v0                               // 00000000BF50: 20240084
	v_mul_i32_i24_e32 v18, 4, v18                              // 00000000BF54: 0C242484
	v_add_u32_e32 v18, s56, v18                                // 00000000BF58: 68242438
	v_add_u32_e32 v19, 1, v18                                  // 00000000BF5C: 68262481
	v_add_u32_e32 v20, 2, v18                                  // 00000000BF60: 68282482
	v_add_u32_e32 v21, 3, v18                                  // 00000000BF64: 682A2483
	v_mov_b32_e32 v29, 0xff800000                              // 00000000BF68: 7E3A02FF FF800000
	v_cmp_le_u32_e64 s[36:37], v18, v28                        // 00000000BF70: D0CB0024 00023912
	v_add_u32_e32 v18, 16, v18                                 // 00000000BF78: 68242490
	s_nop 0                                                    // 00000000BF7C: BF800000
	v_cndmask_b32_e64 v42, v29, v42, s[36:37]                  // 00000000BF80: D100002A 0092551D
	v_cmp_le_u32_e64 s[36:37], v19, v28                        // 00000000BF88: D0CB0024 00023913
	v_add_u32_e32 v19, 16, v19                                 // 00000000BF90: 68262690
	s_nop 0                                                    // 00000000BF94: BF800000
	v_cndmask_b32_e64 v43, v29, v43, s[36:37]                  // 00000000BF98: D100002B 0092571D
	v_cmp_le_u32_e64 s[36:37], v20, v28                        // 00000000BFA0: D0CB0024 00023914
	v_add_u32_e32 v20, 16, v20                                 // 00000000BFA8: 68282890
	s_nop 0                                                    // 00000000BFAC: BF800000
	v_cndmask_b32_e64 v44, v29, v44, s[36:37]                  // 00000000BFB0: D100002C 0092591D
	v_cmp_le_u32_e64 s[36:37], v21, v28                        // 00000000BFB8: D0CB0024 00023915
	v_add_u32_e32 v21, 16, v21                                 // 00000000BFC0: 682A2A90
	s_nop 0                                                    // 00000000BFC4: BF800000
	v_cndmask_b32_e64 v45, v29, v45, s[36:37]                  // 00000000BFC8: D100002D 00925B1D
	v_cmp_le_u32_e64 s[36:37], v18, v28                        // 00000000BFD0: D0CB0024 00023912
	v_add_u32_e32 v18, 16, v18                                 // 00000000BFD8: 68242490
	s_nop 0                                                    // 00000000BFDC: BF800000
	v_cndmask_b32_e64 v46, v29, v46, s[36:37]                  // 00000000BFE0: D100002E 00925D1D
	v_cmp_le_u32_e64 s[36:37], v19, v28                        // 00000000BFE8: D0CB0024 00023913
	v_add_u32_e32 v19, 16, v19                                 // 00000000BFF0: 68262690
	s_nop 0                                                    // 00000000BFF4: BF800000
	v_cndmask_b32_e64 v47, v29, v47, s[36:37]                  // 00000000BFF8: D100002F 00925F1D
	v_cmp_le_u32_e64 s[36:37], v20, v28                        // 00000000C000: D0CB0024 00023914
	v_add_u32_e32 v20, 16, v20                                 // 00000000C008: 68282890
	s_nop 0                                                    // 00000000C00C: BF800000
	v_cndmask_b32_e64 v48, v29, v48, s[36:37]                  // 00000000C010: D1000030 0092611D
	v_cmp_le_u32_e64 s[36:37], v21, v28                        // 00000000C018: D0CB0024 00023915
	v_add_u32_e32 v21, 16, v21                                 // 00000000C020: 682A2A90
	s_nop 0                                                    // 00000000C024: BF800000
	v_cndmask_b32_e64 v49, v29, v49, s[36:37]                  // 00000000C028: D1000031 0092631D

000000000000c030 <label_9B30>:
	s_add_u32 s83, s84, s83                                    // 00000000C030: 80535354
	s_nop 2                                                    // 00000000C034: BF800002
	v_mov_b32_e32 v29, v42                                     // 00000000C038: 7E3A032A
	v_max3_f32 v29, v42, v43, v29                              // 00000000C03C: D1D3001D 0476572A
	v_max3_f32 v29, v44, v45, v29                              // 00000000C044: D1D3001D 04765B2C
	v_max3_f32 v29, v46, v47, v29                              // 00000000C04C: D1D3001D 04765F2E
	v_max3_f32 v29, v48, v49, v29                              // 00000000C054: D1D3001D 04766330
	v_mov_b32_e32 v28, v29                                     // 00000000C05C: 7E38031D
	v_mov_b32_e32 v29, v29                                     // 00000000C060: 7E3A031D
	s_nop 1                                                    // 00000000C064: BF800001
	v_permlane16_swap_b32_e32 v28, v29                         // 00000000C068: 7E38B31D
	v_mov_b32_e32 v31, v28                                     // 00000000C06C: 7E3E031C
	v_mov_b32_e32 v30, v29                                     // 00000000C070: 7E3C031D
	s_nop 1                                                    // 00000000C074: BF800001
	v_permlane32_swap_b32_e32 v28, v29                         // 00000000C078: 7E38B51D
	v_permlane32_swap_b32_e32 v30, v31                         // 00000000C07C: 7E3CB51F
	v_max3_f32 v29, v28, v29, v29                              // 00000000C080: D1D3001D 04763B1C
	v_max3_f32 v29, v30, v31, v29                              // 00000000C088: D1D3001D 04763F1E
	v_mov_b32_e32 v28, 0xff800000                              // 00000000C090: 7E3802FF FF800000
	v_cmp_eq_u32_e64 s[36:37], v28, v2                         // 00000000C098: D0CA0024 0002051C
	v_max_f32_e32 v29, v29, v2                                 // 00000000C0A0: 163A051D
	v_sub_f32_e32 v16, v2, v29                                 // 00000000C0A4: 04203B02
	v_cndmask_b32_e64 v16, v16, 0, s[36:37]                    // 00000000C0A8: D1000010 00910110
	v_mov_b32_e32 v2, v29                                      // 00000000C0B0: 7E04031D
	v_mul_f32_e32 v29, s5, v29                                 // 00000000C0B4: 0A3A3A05
	v_mul_f32_e32 v16, s5, v16                                 // 00000000C0B8: 0A202005
	v_exp_f32_e32 v16, v16                                     // 00000000C0BC: 7E204110
	v_fma_f32 v42, v42, s5, -v29                               // 00000000C0C0: D1CB002A 84740B2A
	v_fma_f32 v43, v43, s5, -v29                               // 00000000C0C8: D1CB002B 84740B2B
	v_fma_f32 v44, v44, s5, -v29                               // 00000000C0D0: D1CB002C 84740B2C
	v_fma_f32 v45, v45, s5, -v29                               // 00000000C0D8: D1CB002D 84740B2D
	v_fma_f32 v46, v46, s5, -v29                               // 00000000C0E0: D1CB002E 84740B2E
	v_fma_f32 v47, v47, s5, -v29                               // 00000000C0E8: D1CB002F 84740B2F
	v_fma_f32 v48, v48, s5, -v29                               // 00000000C0F0: D1CB0030 84740B30
	v_fma_f32 v49, v49, s5, -v29                               // 00000000C0F8: D1CB0031 84740B31
	v_exp_f32_e32 v42, v42                                     // 00000000C100: 7E54412A
	v_exp_f32_e32 v43, v43                                     // 00000000C104: 7E56412B
	v_exp_f32_e32 v44, v44                                     // 00000000C108: 7E58412C
	v_exp_f32_e32 v45, v45                                     // 00000000C10C: 7E5A412D
	v_exp_f32_e32 v46, v46                                     // 00000000C110: 7E5C412E
	v_exp_f32_e32 v47, v47                                     // 00000000C114: 7E5E412F
	v_exp_f32_e32 v48, v48                                     // 00000000C118: 7E604130
	v_exp_f32_e32 v49, v49                                     // 00000000C11C: 7E624131
	v_mul_f32_e32 v4, v16, v4                                  // 00000000C120: 0A080910
	v_mov_b32_e32 v28, v42                                     // 00000000C124: 7E38032A
	v_add_f32_e32 v28, v43, v28                                // 00000000C128: 0238392B
	v_add_f32_e32 v28, v44, v28                                // 00000000C12C: 0238392C
	v_add_f32_e32 v28, v45, v28                                // 00000000C130: 0238392D
	v_add_f32_e32 v28, v46, v28                                // 00000000C134: 0238392E
	v_add_f32_e32 v28, v47, v28                                // 00000000C138: 0238392F
	v_add_f32_e32 v28, v48, v28                                // 00000000C13C: 02383930
	v_add_f32_e32 v28, v49, v28                                // 00000000C140: 02383931
	v_add_f32_e32 v4, v28, v4                                  // 00000000C144: 0208091C
	v_cvt_pk_bf16_f32 v42, v42, v43                            // 00000000C148: D268002A 0002572A
	v_cvt_pk_bf16_f32 v43, v44, v45                            // 00000000C150: D268002B 00025B2C
	v_cvt_pk_bf16_f32 v44, v46, v47                            // 00000000C158: D268002C 00025F2E
	v_cvt_pk_bf16_f32 v45, v48, v49                            // 00000000C160: D268002D 00026330
	s_nop 0                                                    // 00000000C168: BF800000
	v_permlane32_swap_b32_e32 v42, v44                         // 00000000C16C: 7E54B52C
	v_permlane32_swap_b32_e32 v43, v45                         // 00000000C170: 7E56B52D
	s_nop 0                                                    // 00000000C174: BF800000
	v_permlane16_swap_b32_e32 v42, v44                         // 00000000C178: 7E54B32C
	v_permlane16_swap_b32_e32 v43, v45                         // 00000000C17C: 7E56B32D
	v_mov_b32_e32 v30, v16                                     // 00000000C180: 7E3C0310
	v_mov_b32_e32 v31, v16                                     // 00000000C184: 7E3E0310
	v_pk_mul_f32 v[50:51], v[30:31], v[50:51]                  // 00000000C188: D3B14032 1802651E
	v_pk_mul_f32 v[52:53], v[30:31], v[52:53]                  // 00000000C190: D3B14034 1802691E
	v_pk_mul_f32 v[54:55], v[30:31], v[54:55]                  // 00000000C198: D3B14036 18026D1E
	v_pk_mul_f32 v[56:57], v[30:31], v[56:57]                  // 00000000C1A0: D3B14038 1802711E
	v_pk_mul_f32 v[58:59], v[30:31], v[58:59]                  // 00000000C1A8: D3B1403A 1802751E
	v_pk_mul_f32 v[60:61], v[30:31], v[60:61]                  // 00000000C1B0: D3B1403C 1802791E
	v_pk_mul_f32 v[62:63], v[30:31], v[62:63]                  // 00000000C1B8: D3B1403E 18027D1E
	v_pk_mul_f32 v[64:65], v[30:31], v[64:65]                  // 00000000C1C0: D3B14040 1802811E
	v_pk_mul_f32 v[66:67], v[30:31], v[66:67]                  // 00000000C1C8: D3B14042 1802851E
	v_pk_mul_f32 v[68:69], v[30:31], v[68:69]                  // 00000000C1D0: D3B14044 1802891E
	v_pk_mul_f32 v[70:71], v[30:31], v[70:71]                  // 00000000C1D8: D3B14046 18028D1E
	v_pk_mul_f32 v[72:73], v[30:31], v[72:73]                  // 00000000C1E0: D3B14048 1802911E
	v_pk_mul_f32 v[74:75], v[30:31], v[74:75]                  // 00000000C1E8: D3B1404A 1802951E
	v_pk_mul_f32 v[76:77], v[30:31], v[76:77]                  // 00000000C1F0: D3B1404C 1802991E
	v_pk_mul_f32 v[78:79], v[30:31], v[78:79]                  // 00000000C1F8: D3B1404E 18029D1E
	v_pk_mul_f32 v[80:81], v[30:31], v[80:81]                  // 00000000C200: D3B14050 1802A11E
	v_pk_mul_f32 v[82:83], v[30:31], v[82:83]                  // 00000000C208: D3B14052 1802A51E
	v_pk_mul_f32 v[84:85], v[30:31], v[84:85]                  // 00000000C210: D3B14054 1802A91E
	v_pk_mul_f32 v[86:87], v[30:31], v[86:87]                  // 00000000C218: D3B14056 1802AD1E
	v_pk_mul_f32 v[88:89], v[30:31], v[88:89]                  // 00000000C220: D3B14058 1802B11E
	v_pk_mul_f32 v[90:91], v[30:31], v[90:91]                  // 00000000C228: D3B1405A 1802B51E
	v_pk_mul_f32 v[92:93], v[30:31], v[92:93]                  // 00000000C230: D3B1405C 1802B91E
	v_pk_mul_f32 v[94:95], v[30:31], v[94:95]                  // 00000000C238: D3B1405E 1802BD1E
	v_pk_mul_f32 v[96:97], v[30:31], v[96:97]                  // 00000000C240: D3B14060 1802C11E
	v_pk_mul_f32 v[98:99], v[30:31], v[98:99]                  // 00000000C248: D3B14062 1802C51E
	v_pk_mul_f32 v[100:101], v[30:31], v[100:101]              // 00000000C250: D3B14064 1802C91E
	v_pk_mul_f32 v[102:103], v[30:31], v[102:103]              // 00000000C258: D3B14066 1802CD1E
	v_pk_mul_f32 v[104:105], v[30:31], v[104:105]              // 00000000C260: D3B14068 1802D11E
	v_pk_mul_f32 v[106:107], v[30:31], v[106:107]              // 00000000C268: D3B1406A 1802D51E
	v_pk_mul_f32 v[108:109], v[30:31], v[108:109]              // 00000000C270: D3B1406C 1802D91E
	v_pk_mul_f32 v[110:111], v[30:31], v[110:111]              // 00000000C278: D3B1406E 1802DD1E
	v_pk_mul_f32 v[112:113], v[30:31], v[112:113]              // 00000000C280: D3B14070 1802E11E
	v_pk_mul_f32 v[114:115], v[30:31], v[114:115]              // 00000000C288: D3B14072 1802E51E
	v_pk_mul_f32 v[116:117], v[30:31], v[116:117]              // 00000000C290: D3B14074 1802E91E
	v_pk_mul_f32 v[118:119], v[30:31], v[118:119]              // 00000000C298: D3B14076 1802ED1E
	v_pk_mul_f32 v[120:121], v[30:31], v[120:121]              // 00000000C2A0: D3B14078 1802F11E
	v_pk_mul_f32 v[122:123], v[30:31], v[122:123]              // 00000000C2A8: D3B1407A 1802F51E
	v_pk_mul_f32 v[124:125], v[30:31], v[124:125]              // 00000000C2B0: D3B1407C 1802F91E
	v_pk_mul_f32 v[126:127], v[30:31], v[126:127]              // 00000000C2B8: D3B1407E 1802FD1E
	v_pk_mul_f32 v[128:129], v[30:31], v[128:129]              // 00000000C2C0: D3B14080 1803011E
	v_pk_mul_f32 v[130:131], v[30:31], v[130:131]              // 00000000C2C8: D3B14082 1803051E
	v_pk_mul_f32 v[132:133], v[30:31], v[132:133]              // 00000000C2D0: D3B14084 1803091E
	v_pk_mul_f32 v[134:135], v[30:31], v[134:135]              // 00000000C2D8: D3B14086 18030D1E
	v_pk_mul_f32 v[136:137], v[30:31], v[136:137]              // 00000000C2E0: D3B14088 1803111E
	v_pk_mul_f32 v[138:139], v[30:31], v[138:139]              // 00000000C2E8: D3B1408A 1803151E
	v_pk_mul_f32 v[140:141], v[30:31], v[140:141]              // 00000000C2F0: D3B1408C 1803191E
	v_pk_mul_f32 v[142:143], v[30:31], v[142:143]              // 00000000C2F8: D3B1408E 18031D1E
	v_pk_mul_f32 v[144:145], v[30:31], v[144:145]              // 00000000C300: D3B14090 1803211E
	v_pk_mul_f32 v[146:147], v[30:31], v[146:147]              // 00000000C308: D3B14092 1803251E
	v_pk_mul_f32 v[148:149], v[30:31], v[148:149]              // 00000000C310: D3B14094 1803291E
	v_pk_mul_f32 v[150:151], v[30:31], v[150:151]              // 00000000C318: D3B14096 18032D1E
	v_pk_mul_f32 v[152:153], v[30:31], v[152:153]              // 00000000C320: D3B14098 1803311E
	v_pk_mul_f32 v[154:155], v[30:31], v[154:155]              // 00000000C328: D3B1409A 1803351E
	v_pk_mul_f32 v[156:157], v[30:31], v[156:157]              // 00000000C330: D3B1409C 1803391E
	v_pk_mul_f32 v[158:159], v[30:31], v[158:159]              // 00000000C338: D3B1409E 18033D1E
	v_pk_mul_f32 v[160:161], v[30:31], v[160:161]              // 00000000C340: D3B140A0 1803411E
	v_pk_mul_f32 v[162:163], v[30:31], v[162:163]              // 00000000C348: D3B140A2 1803451E
	v_pk_mul_f32 v[164:165], v[30:31], v[164:165]              // 00000000C350: D3B140A4 1803491E
	v_pk_mul_f32 v[166:167], v[30:31], v[166:167]              // 00000000C358: D3B140A6 18034D1E
	v_pk_mul_f32 v[168:169], v[30:31], v[168:169]              // 00000000C360: D3B140A8 1803511E
	v_pk_mul_f32 v[170:171], v[30:31], v[170:171]              // 00000000C368: D3B140AA 1803551E
	v_pk_mul_f32 v[172:173], v[30:31], v[172:173]              // 00000000C370: D3B140AC 1803591E
	v_pk_mul_f32 v[174:175], v[30:31], v[174:175]              // 00000000C378: D3B140AE 18035D1E
	v_pk_mul_f32 v[176:177], v[30:31], v[176:177]              // 00000000C380: D3B140B0 1803611E
	s_waitcnt lgkmcnt(0)                                       // 00000000C388: BF8CC07F
	v_mfma_f32_16x16x32_bf16 v[50:53], a[144:147], v[42:45], v[50:53]// 00000000C38C: D3B50032 0CCA5590
	v_mfma_f32_16x16x32_bf16 v[54:57], a[148:151], v[42:45], v[54:57]// 00000000C394: D3B50036 0CDA5594
	v_mfma_f32_16x16x32_bf16 v[58:61], a[152:155], v[42:45], v[58:61]// 00000000C39C: D3B5003A 0CEA5598
	v_mfma_f32_16x16x32_bf16 v[62:65], a[156:159], v[42:45], v[62:65]// 00000000C3A4: D3B5003E 0CFA559C
	v_mfma_f32_16x16x32_bf16 v[66:69], a[160:163], v[42:45], v[66:69]// 00000000C3AC: D3B50042 0D0A55A0
	v_mfma_f32_16x16x32_bf16 v[70:73], a[164:167], v[42:45], v[70:73]// 00000000C3B4: D3B50046 0D1A55A4
	v_mfma_f32_16x16x32_bf16 v[74:77], a[168:171], v[42:45], v[74:77]// 00000000C3BC: D3B5004A 0D2A55A8
	v_mfma_f32_16x16x32_bf16 v[78:81], a[172:175], v[42:45], v[78:81]// 00000000C3C4: D3B5004E 0D3A55AC
	v_mfma_f32_16x16x32_bf16 v[82:85], a[176:179], v[42:45], v[82:85]// 00000000C3CC: D3B50052 0D4A55B0
	v_mfma_f32_16x16x32_bf16 v[86:89], a[180:183], v[42:45], v[86:89]// 00000000C3D4: D3B50056 0D5A55B4
	v_mfma_f32_16x16x32_bf16 v[90:93], a[184:187], v[42:45], v[90:93]// 00000000C3DC: D3B5005A 0D6A55B8
	ds_read_b64_tr_b16 a[144:145], v10 offset:8192             // 00000000C3E4: DBC62000 9000000A
	ds_read_b64_tr_b16 a[146:147], v10 offset:8448             // 00000000C3EC: DBC62100 9200000A
	ds_read_b64_tr_b16 a[148:149], v11 offset:8192             // 00000000C3F4: DBC62000 9400000B
	ds_read_b64_tr_b16 a[150:151], v11 offset:8448             // 00000000C3FC: DBC62100 9600000B
	v_mfma_f32_16x16x32_bf16 v[94:97], a[188:191], v[42:45], v[94:97]// 00000000C404: D3B5005E 0D7A55BC
	ds_read_b64_tr_b16 a[152:153], v10 offset:9216             // 00000000C40C: DBC62400 9800000A
	ds_read_b64_tr_b16 a[154:155], v10 offset:9472             // 00000000C414: DBC62500 9A00000A
	ds_read_b64_tr_b16 a[156:157], v11 offset:9216             // 00000000C41C: DBC62400 9C00000B
	ds_read_b64_tr_b16 a[158:159], v11 offset:9472             // 00000000C424: DBC62500 9E00000B
	v_mfma_f32_16x16x32_bf16 v[98:101], a[192:195], v[42:45], v[98:101]// 00000000C42C: D3B50062 0D8A55C0
	ds_read_b64_tr_b16 a[160:161], v10 offset:10240            // 00000000C434: DBC62800 A000000A
	ds_read_b64_tr_b16 a[162:163], v10 offset:10496            // 00000000C43C: DBC62900 A200000A
	ds_read_b64_tr_b16 a[164:165], v11 offset:10240            // 00000000C444: DBC62800 A400000B
	ds_read_b64_tr_b16 a[166:167], v11 offset:10496            // 00000000C44C: DBC62900 A600000B
	v_mfma_f32_16x16x32_bf16 v[102:105], a[196:199], v[42:45], v[102:105]// 00000000C454: D3B50066 0D9A55C4
	ds_read_b64_tr_b16 a[168:169], v10 offset:11264            // 00000000C45C: DBC62C00 A800000A
	ds_read_b64_tr_b16 a[170:171], v10 offset:11520            // 00000000C464: DBC62D00 AA00000A
	ds_read_b64_tr_b16 a[172:173], v11 offset:11264            // 00000000C46C: DBC62C00 AC00000B
	ds_read_b64_tr_b16 a[174:175], v11 offset:11520            // 00000000C474: DBC62D00 AE00000B
	v_mfma_f32_16x16x32_bf16 v[106:109], a[200:203], v[42:45], v[106:109]// 00000000C47C: D3B5006A 0DAA55C8
	ds_read_b64_tr_b16 a[176:177], v10 offset:12288            // 00000000C484: DBC63000 B000000A
	ds_read_b64_tr_b16 a[178:179], v10 offset:12544            // 00000000C48C: DBC63100 B200000A
	ds_read_b64_tr_b16 a[180:181], v11 offset:12288            // 00000000C494: DBC63000 B400000B
	ds_read_b64_tr_b16 a[182:183], v11 offset:12544            // 00000000C49C: DBC63100 B600000B
	v_mfma_f32_16x16x32_bf16 v[110:113], a[204:207], v[42:45], v[110:113]// 00000000C4A4: D3B5006E 0DBA55CC
	ds_read_b64_tr_b16 a[184:185], v10 offset:13312            // 00000000C4AC: DBC63400 B800000A
	ds_read_b64_tr_b16 a[186:187], v10 offset:13568            // 00000000C4B4: DBC63500 BA00000A
	ds_read_b64_tr_b16 a[188:189], v11 offset:13312            // 00000000C4BC: DBC63400 BC00000B
	ds_read_b64_tr_b16 a[190:191], v11 offset:13568            // 00000000C4C4: DBC63500 BE00000B
	ds_read_b64_tr_b16 a[192:193], v10 offset:14336            // 00000000C4CC: DBC63800 C000000A
	ds_read_b64_tr_b16 a[194:195], v10 offset:14592            // 00000000C4D4: DBC63900 C200000A
	ds_read_b64_tr_b16 a[196:197], v11 offset:14336            // 00000000C4DC: DBC63800 C400000B
	ds_read_b64_tr_b16 a[198:199], v11 offset:14592            // 00000000C4E4: DBC63900 C600000B
	ds_read_b64_tr_b16 a[200:201], v10 offset:15360            // 00000000C4EC: DBC63C00 C800000A
	ds_read_b64_tr_b16 a[202:203], v10 offset:15616            // 00000000C4F4: DBC63D00 CA00000A
	ds_read_b64_tr_b16 a[204:205], v11 offset:15360            // 00000000C4FC: DBC63C00 CC00000B
	ds_read_b64_tr_b16 a[206:207], v11 offset:15616            // 00000000C504: DBC63D00 CE00000B
	s_waitcnt lgkmcnt(0)                                       // 00000000C50C: BF8CC07F
	v_mfma_f32_16x16x32_bf16 v[114:117], a[144:147], v[42:45], v[114:117]// 00000000C510: D3B50072 0DCA5590
	v_mfma_f32_16x16x32_bf16 v[118:121], a[148:151], v[42:45], v[118:121]// 00000000C518: D3B50076 0DDA5594
	v_mfma_f32_16x16x32_bf16 v[122:125], a[152:155], v[42:45], v[122:125]// 00000000C520: D3B5007A 0DEA5598
	v_mfma_f32_16x16x32_bf16 v[126:129], a[156:159], v[42:45], v[126:129]// 00000000C528: D3B5007E 0DFA559C
	v_mfma_f32_16x16x32_bf16 v[130:133], a[160:163], v[42:45], v[130:133]// 00000000C530: D3B50082 0E0A55A0
	v_mfma_f32_16x16x32_bf16 v[134:137], a[164:167], v[42:45], v[134:137]// 00000000C538: D3B50086 0E1A55A4
	v_mfma_f32_16x16x32_bf16 v[138:141], a[168:171], v[42:45], v[138:141]// 00000000C540: D3B5008A 0E2A55A8
	v_mfma_f32_16x16x32_bf16 v[142:145], a[172:175], v[42:45], v[142:145]// 00000000C548: D3B5008E 0E3A55AC
	v_mfma_f32_16x16x32_bf16 v[146:149], a[176:179], v[42:45], v[146:149]// 00000000C550: D3B50092 0E4A55B0
	v_mfma_f32_16x16x32_bf16 v[150:153], a[180:183], v[42:45], v[150:153]// 00000000C558: D3B50096 0E5A55B4
	v_mfma_f32_16x16x32_bf16 v[154:157], a[184:187], v[42:45], v[154:157]// 00000000C560: D3B5009A 0E6A55B8
	v_mfma_f32_16x16x32_bf16 v[158:161], a[188:191], v[42:45], v[158:161]// 00000000C568: D3B5009E 0E7A55BC
	v_mfma_f32_16x16x32_bf16 v[162:165], a[192:195], v[42:45], v[162:165]// 00000000C570: D3B500A2 0E8A55C0
	v_mfma_f32_16x16x32_bf16 v[166:169], a[196:199], v[42:45], v[166:169]// 00000000C578: D3B500A6 0E9A55C4
	v_mfma_f32_16x16x32_bf16 v[170:173], a[200:203], v[42:45], v[170:173]// 00000000C580: D3B500AA 0EAA55C8
	v_mfma_f32_16x16x32_bf16 v[174:177], a[204:207], v[42:45], v[174:177]// 00000000C588: D3B500AE 0EBA55CC
	s_nop 8                                                    // 00000000C590: BF800008
	s_branch label_B6B8                                        // 00000000C594: BF820506

000000000000c598 <label_A098>:
	s_waitcnt lgkmcnt(0)                                       // 00000000C598: BF8CC07F
	v_mfma_f32_16x16x32_bf16 v[34:37], a[72:75], a[0:3], 0     // 00000000C59C: D3B50022 1A020148
	v_mfma_f32_16x16x32_bf16 v[34:37], a[76:79], a[4:7], v[34:37]// 00000000C5A4: D3B50022 1C8A094C
	v_mfma_f32_16x16x32_bf16 v[34:37], a[80:83], a[8:11], v[34:37]// 00000000C5AC: D3B50022 1C8A1150
	v_mfma_f32_16x16x32_bf16 v[34:37], a[84:87], a[12:15], v[34:37]// 00000000C5B4: D3B50022 1C8A1954
	v_mfma_f32_16x16x32_bf16 v[34:37], a[88:91], a[16:19], v[34:37]// 00000000C5BC: D3B50022 1C8A2158
	v_mfma_f32_16x16x32_bf16 v[34:37], a[92:95], a[20:23], v[34:37]// 00000000C5C4: D3B50022 1C8A295C
	v_mfma_f32_16x16x32_bf16 v[34:37], a[96:99], a[24:27], v[34:37]// 00000000C5CC: D3B50022 1C8A3160
	v_mfma_f32_16x16x32_bf16 v[34:37], a[100:103], a[28:31], v[34:37]// 00000000C5D4: D3B50022 1C8A3964
	ds_read_b128 a[72:75], v20 offset:18432                    // 00000000C5DC: DBFE4800 48000014
	ds_read_b128 a[76:79], v20 offset:19456                    // 00000000C5E4: DBFE4C00 4C000014
	v_mfma_f32_16x16x32_bf16 v[34:37], a[104:107], a[32:35], v[34:37]// 00000000C5EC: D3B50022 1C8A4168
	v_mfma_f32_16x16x32_bf16 v[34:37], a[108:111], a[36:39], v[34:37]// 00000000C5F4: D3B50022 1C8A496C
	ds_read_b128 a[80:83], v20 offset:20480                    // 00000000C5FC: DBFE5000 50000014
	ds_read_b128 a[84:87], v20 offset:21504                    // 00000000C604: DBFE5400 54000014
	v_mfma_f32_16x16x32_bf16 v[34:37], a[112:115], a[40:43], v[34:37]// 00000000C60C: D3B50022 1C8A5170
	v_mfma_f32_16x16x32_bf16 v[34:37], a[116:119], a[44:47], v[34:37]// 00000000C614: D3B50022 1C8A5974
	ds_read_b128 a[88:91], v20 offset:22528                    // 00000000C61C: DBFE5800 58000014
	ds_read_b128 a[92:95], v20 offset:23552                    // 00000000C624: DBFE5C00 5C000014
	v_mfma_f32_16x16x32_bf16 v[34:37], a[120:123], a[48:51], v[34:37]// 00000000C62C: D3B50022 1C8A6178
	v_mfma_f32_16x16x32_bf16 v[34:37], a[124:127], a[52:55], v[34:37]// 00000000C634: D3B50022 1C8A697C
	ds_read_b128 a[96:99], v20 offset:24576                    // 00000000C63C: DBFE6000 60000014
	ds_read_b128 a[100:103], v20 offset:25600                  // 00000000C644: DBFE6400 64000014
	v_mfma_f32_16x16x32_bf16 v[34:37], a[128:131], a[56:59], v[34:37]// 00000000C64C: D3B50022 1C8A7180
	v_mfma_f32_16x16x32_bf16 v[34:37], a[132:135], a[60:63], v[34:37]// 00000000C654: D3B50022 1C8A7984
	ds_read_b128 a[104:107], v20 offset:26624                  // 00000000C65C: DBFE6800 68000014
	ds_read_b128 a[108:111], v20 offset:27648                  // 00000000C664: DBFE6C00 6C000014
	v_mfma_f32_16x16x32_bf16 v[34:37], a[136:139], a[64:67], v[34:37]// 00000000C66C: D3B50022 1C8A8188
	v_mfma_f32_16x16x32_bf16 v[34:37], a[140:143], a[68:71], v[34:37]// 00000000C674: D3B50022 1C8A898C
	ds_read_b128 a[112:115], v20 offset:28672                  // 00000000C67C: DBFE7000 70000014
	ds_read_b128 a[116:119], v20 offset:29696                  // 00000000C684: DBFE7400 74000014
	ds_read_b128 a[120:123], v20 offset:30720                  // 00000000C68C: DBFE7800 78000014
	ds_read_b128 a[124:127], v20 offset:31744                  // 00000000C694: DBFE7C00 7C000014
	ds_read_b128 a[128:131], v20 offset:32768                  // 00000000C69C: DBFE8000 80000014
	ds_read_b128 a[132:135], v20 offset:33792                  // 00000000C6A4: DBFE8400 84000014
	ds_read_b128 a[136:139], v20 offset:34816                  // 00000000C6AC: DBFE8800 88000014
	ds_read_b128 a[140:143], v20 offset:35840                  // 00000000C6B4: DBFE8C00 8C000014
	s_waitcnt lgkmcnt(0)                                       // 00000000C6BC: BF8CC07F
	v_mfma_f32_16x16x32_bf16 v[38:41], a[72:75], a[0:3], 0     // 00000000C6C0: D3B50026 1A020148
	ds_read_b64_tr_b16 a[144:145], v12                         // 00000000C6C8: DBC60000 9000000C
	ds_read_b64_tr_b16 a[146:147], v12 offset:256              // 00000000C6D0: DBC60100 9200000C
	ds_read_b64_tr_b16 a[148:149], v13                         // 00000000C6D8: DBC60000 9400000D
	ds_read_b64_tr_b16 a[150:151], v13 offset:256              // 00000000C6E0: DBC60100 9600000D
	v_mfma_f32_16x16x32_bf16 v[38:41], a[76:79], a[4:7], v[38:41]// 00000000C6E8: D3B50026 1C9A094C
	ds_read_b64_tr_b16 a[152:153], v12 offset:1024             // 00000000C6F0: DBC60400 9800000C
	ds_read_b64_tr_b16 a[154:155], v12 offset:1280             // 00000000C6F8: DBC60500 9A00000C
	ds_read_b64_tr_b16 a[156:157], v13 offset:1024             // 00000000C700: DBC60400 9C00000D
	ds_read_b64_tr_b16 a[158:159], v13 offset:1280             // 00000000C708: DBC60500 9E00000D
	v_mfma_f32_16x16x32_bf16 v[38:41], a[80:83], a[8:11], v[38:41]// 00000000C710: D3B50026 1C9A1150
	ds_read_b64_tr_b16 a[160:161], v12 offset:2048             // 00000000C718: DBC60800 A000000C
	ds_read_b64_tr_b16 a[162:163], v12 offset:2304             // 00000000C720: DBC60900 A200000C
	ds_read_b64_tr_b16 a[164:165], v13 offset:2048             // 00000000C728: DBC60800 A400000D
	ds_read_b64_tr_b16 a[166:167], v13 offset:2304             // 00000000C730: DBC60900 A600000D
	v_mfma_f32_16x16x32_bf16 v[38:41], a[84:87], a[12:15], v[38:41]// 00000000C738: D3B50026 1C9A1954
	ds_read_b64_tr_b16 a[168:169], v12 offset:3072             // 00000000C740: DBC60C00 A800000C
	ds_read_b64_tr_b16 a[170:171], v12 offset:3328             // 00000000C748: DBC60D00 AA00000C
	ds_read_b64_tr_b16 a[172:173], v13 offset:3072             // 00000000C750: DBC60C00 AC00000D
	ds_read_b64_tr_b16 a[174:175], v13 offset:3328             // 00000000C758: DBC60D00 AE00000D
	v_mfma_f32_16x16x32_bf16 v[38:41], a[88:91], a[16:19], v[38:41]// 00000000C760: D3B50026 1C9A2158
	ds_read_b64_tr_b16 a[176:177], v12 offset:4096             // 00000000C768: DBC61000 B000000C
	ds_read_b64_tr_b16 a[178:179], v12 offset:4352             // 00000000C770: DBC61100 B200000C
	ds_read_b64_tr_b16 a[180:181], v13 offset:4096             // 00000000C778: DBC61000 B400000D
	ds_read_b64_tr_b16 a[182:183], v13 offset:4352             // 00000000C780: DBC61100 B600000D
	v_mfma_f32_16x16x32_bf16 v[38:41], a[92:95], a[20:23], v[38:41]// 00000000C788: D3B50026 1C9A295C
	ds_read_b64_tr_b16 a[184:185], v12 offset:5120             // 00000000C790: DBC61400 B800000C
	ds_read_b64_tr_b16 a[186:187], v12 offset:5376             // 00000000C798: DBC61500 BA00000C
	ds_read_b64_tr_b16 a[188:189], v13 offset:5120             // 00000000C7A0: DBC61400 BC00000D
	ds_read_b64_tr_b16 a[190:191], v13 offset:5376             // 00000000C7A8: DBC61500 BE00000D
	v_mfma_f32_16x16x32_bf16 v[38:41], a[96:99], a[24:27], v[38:41]// 00000000C7B0: D3B50026 1C9A3160
	ds_read_b64_tr_b16 a[192:193], v12 offset:6144             // 00000000C7B8: DBC61800 C000000C
	ds_read_b64_tr_b16 a[194:195], v12 offset:6400             // 00000000C7C0: DBC61900 C200000C
	ds_read_b64_tr_b16 a[196:197], v13 offset:6144             // 00000000C7C8: DBC61800 C400000D
	ds_read_b64_tr_b16 a[198:199], v13 offset:6400             // 00000000C7D0: DBC61900 C600000D
	v_mfma_f32_16x16x32_bf16 v[38:41], a[100:103], a[28:31], v[38:41]// 00000000C7D8: D3B50026 1C9A3964
	ds_read_b64_tr_b16 a[200:201], v12 offset:7168             // 00000000C7E0: DBC61C00 C800000C
	ds_read_b64_tr_b16 a[202:203], v12 offset:7424             // 00000000C7E8: DBC61D00 CA00000C
	ds_read_b64_tr_b16 a[204:205], v13 offset:7168             // 00000000C7F0: DBC61C00 CC00000D
	ds_read_b64_tr_b16 a[206:207], v13 offset:7424             // 00000000C7F8: DBC61D00 CE00000D
	v_mfma_f32_16x16x32_bf16 v[38:41], a[104:107], a[32:35], v[38:41]// 00000000C800: D3B50026 1C9A4168
	v_mfma_f32_16x16x32_bf16 v[38:41], a[108:111], a[36:39], v[38:41]// 00000000C808: D3B50026 1C9A496C
	v_mfma_f32_16x16x32_bf16 v[38:41], a[112:115], a[40:43], v[38:41]// 00000000C810: D3B50026 1C9A5170
	v_mfma_f32_16x16x32_bf16 v[38:41], a[116:119], a[44:47], v[38:41]// 00000000C818: D3B50026 1C9A5974
	v_mfma_f32_16x16x32_bf16 v[38:41], a[120:123], a[48:51], v[38:41]// 00000000C820: D3B50026 1C9A6178
	v_mfma_f32_16x16x32_bf16 v[38:41], a[124:127], a[52:55], v[38:41]// 00000000C828: D3B50026 1C9A697C
	v_mfma_f32_16x16x32_bf16 v[38:41], a[128:131], a[56:59], v[38:41]// 00000000C830: D3B50026 1C9A7180
	v_mfma_f32_16x16x32_bf16 v[38:41], a[132:135], a[60:63], v[38:41]// 00000000C838: D3B50026 1C9A7984
	v_mfma_f32_16x16x32_bf16 v[38:41], a[136:139], a[64:67], v[38:41]// 00000000C840: D3B50026 1C9A8188
	v_mfma_f32_16x16x32_bf16 v[38:41], a[140:143], a[68:71], v[38:41]// 00000000C848: D3B50026 1C9A898C
	s_nop 8                                                    // 00000000C850: BF800008
	s_and_b32 s56, s48, 0xff                                   // 00000000C854: 8638FF30 000000FF
	v_mov_b32_e32 v29, s56                                     // 00000000C85C: 7E3A0238
	v_lshrrev_b32_e32 v18, 4, v0                               // 00000000C860: 20240084
	v_mul_i32_i24_e32 v18, 4, v18                              // 00000000C864: 0C242484
	v_add_u32_e32 v19, 1, v18                                  // 00000000C868: 68262481
	v_add_u32_e32 v20, 2, v18                                  // 00000000C86C: 68282482
	v_add_u32_e32 v21, 3, v18                                  // 00000000C870: 682A2483
	v_mov_b32_e32 v28, 0xff800000                              // 00000000C874: 7E3802FF FF800000
	v_cmp_lt_u32_e64 s[36:37], v18, v29                        // 00000000C87C: D0C90024 00023B12
	v_add_u32_e32 v18, 16, v18                                 // 00000000C884: 68242490
	s_nop 0                                                    // 00000000C888: BF800000
	v_cndmask_b32_e64 v34, v28, v34, s[36:37]                  // 00000000C88C: D1000022 0092451C
	v_cmp_lt_u32_e64 s[36:37], v19, v29                        // 00000000C894: D0C90024 00023B13
	v_add_u32_e32 v19, 16, v19                                 // 00000000C89C: 68262690
	s_nop 0                                                    // 00000000C8A0: BF800000
	v_cndmask_b32_e64 v35, v28, v35, s[36:37]                  // 00000000C8A4: D1000023 0092471C
	v_cmp_lt_u32_e64 s[36:37], v20, v29                        // 00000000C8AC: D0C90024 00023B14
	v_add_u32_e32 v20, 16, v20                                 // 00000000C8B4: 68282890
	s_nop 0                                                    // 00000000C8B8: BF800000
	v_cndmask_b32_e64 v36, v28, v36, s[36:37]                  // 00000000C8BC: D1000024 0092491C
	v_cmp_lt_u32_e64 s[36:37], v21, v29                        // 00000000C8C4: D0C90024 00023B15
	v_add_u32_e32 v21, 16, v21                                 // 00000000C8CC: 682A2A90
	s_nop 0                                                    // 00000000C8D0: BF800000
	v_cndmask_b32_e64 v37, v28, v37, s[36:37]                  // 00000000C8D4: D1000025 00924B1C
	v_cmp_lt_u32_e64 s[36:37], v18, v29                        // 00000000C8DC: D0C90024 00023B12
	v_add_u32_e32 v18, 16, v18                                 // 00000000C8E4: 68242490
	s_nop 0                                                    // 00000000C8E8: BF800000
	v_cndmask_b32_e64 v38, v28, v38, s[36:37]                  // 00000000C8EC: D1000026 00924D1C
	v_cmp_lt_u32_e64 s[36:37], v19, v29                        // 00000000C8F4: D0C90024 00023B13
	v_add_u32_e32 v19, 16, v19                                 // 00000000C8FC: 68262690
	s_nop 0                                                    // 00000000C900: BF800000
	v_cndmask_b32_e64 v39, v28, v39, s[36:37]                  // 00000000C904: D1000027 00924F1C
	v_cmp_lt_u32_e64 s[36:37], v20, v29                        // 00000000C90C: D0C90024 00023B14
	v_add_u32_e32 v20, 16, v20                                 // 00000000C914: 68282890
	s_nop 0                                                    // 00000000C918: BF800000
	v_cndmask_b32_e64 v40, v28, v40, s[36:37]                  // 00000000C91C: D1000028 0092511C
	v_cmp_lt_u32_e64 s[36:37], v21, v29                        // 00000000C924: D0C90024 00023B15
	v_add_u32_e32 v21, 16, v21                                 // 00000000C92C: 682A2A90
	s_nop 0                                                    // 00000000C930: BF800000
	v_cndmask_b32_e64 v41, v28, v41, s[36:37]                  // 00000000C934: D1000029 0092531C
	s_cmp_le_i32 s83, s82                                      // 00000000C93C: BF055253
	s_cbranch_scc1 label_A53C                                  // 00000000C940: BF85003E
	v_mov_b32_e32 v28, s82                                     // 00000000C944: 7E380252
	s_lshl_b32 s56, s2, 1                                      // 00000000C948: 8E388102
	s_lshr_b32 s57, s7, 1                                      // 00000000C94C: 8F398107
	s_add_u32 s56, s56, s57                                    // 00000000C950: 80383938
	v_add_u32_e32 v28, s56, v28                                // 00000000C954: 68383838
	s_sub_u32 s56, s83, 31                                     // 00000000C958: 80B89F53
	v_lshrrev_b32_e32 v18, 4, v0                               // 00000000C95C: 20240084
	v_mul_i32_i24_e32 v18, 4, v18                              // 00000000C960: 0C242484
	v_add_u32_e32 v18, s56, v18                                // 00000000C964: 68242438
	v_add_u32_e32 v19, 1, v18                                  // 00000000C968: 68262481
	v_add_u32_e32 v20, 2, v18                                  // 00000000C96C: 68282482
	v_add_u32_e32 v21, 3, v18                                  // 00000000C970: 682A2483
	v_mov_b32_e32 v29, 0xff800000                              // 00000000C974: 7E3A02FF FF800000
	v_cmp_le_u32_e64 s[36:37], v18, v28                        // 00000000C97C: D0CB0024 00023912
	v_add_u32_e32 v18, 16, v18                                 // 00000000C984: 68242490
	s_nop 0                                                    // 00000000C988: BF800000
	v_cndmask_b32_e64 v34, v29, v34, s[36:37]                  // 00000000C98C: D1000022 0092451D
	v_cmp_le_u32_e64 s[36:37], v19, v28                        // 00000000C994: D0CB0024 00023913
	v_add_u32_e32 v19, 16, v19                                 // 00000000C99C: 68262690
	s_nop 0                                                    // 00000000C9A0: BF800000
	v_cndmask_b32_e64 v35, v29, v35, s[36:37]                  // 00000000C9A4: D1000023 0092471D
	v_cmp_le_u32_e64 s[36:37], v20, v28                        // 00000000C9AC: D0CB0024 00023914
	v_add_u32_e32 v20, 16, v20                                 // 00000000C9B4: 68282890
	s_nop 0                                                    // 00000000C9B8: BF800000
	v_cndmask_b32_e64 v36, v29, v36, s[36:37]                  // 00000000C9BC: D1000024 0092491D
	v_cmp_le_u32_e64 s[36:37], v21, v28                        // 00000000C9C4: D0CB0024 00023915
	v_add_u32_e32 v21, 16, v21                                 // 00000000C9CC: 682A2A90
	s_nop 0                                                    // 00000000C9D0: BF800000
	v_cndmask_b32_e64 v37, v29, v37, s[36:37]                  // 00000000C9D4: D1000025 00924B1D
	v_cmp_le_u32_e64 s[36:37], v18, v28                        // 00000000C9DC: D0CB0024 00023912
	v_add_u32_e32 v18, 16, v18                                 // 00000000C9E4: 68242490
	s_nop 0                                                    // 00000000C9E8: BF800000
	v_cndmask_b32_e64 v38, v29, v38, s[36:37]                  // 00000000C9EC: D1000026 00924D1D
	v_cmp_le_u32_e64 s[36:37], v19, v28                        // 00000000C9F4: D0CB0024 00023913
	v_add_u32_e32 v19, 16, v19                                 // 00000000C9FC: 68262690
	s_nop 0                                                    // 00000000CA00: BF800000
	v_cndmask_b32_e64 v39, v29, v39, s[36:37]                  // 00000000CA04: D1000027 00924F1D
	v_cmp_le_u32_e64 s[36:37], v20, v28                        // 00000000CA0C: D0CB0024 00023914
	v_add_u32_e32 v20, 16, v20                                 // 00000000CA14: 68282890
	s_nop 0                                                    // 00000000CA18: BF800000
	v_cndmask_b32_e64 v40, v29, v40, s[36:37]                  // 00000000CA1C: D1000028 0092511D
	v_cmp_le_u32_e64 s[36:37], v21, v28                        // 00000000CA24: D0CB0024 00023915
	v_add_u32_e32 v21, 16, v21                                 // 00000000CA2C: 682A2A90
	s_nop 0                                                    // 00000000CA30: BF800000
	v_cndmask_b32_e64 v41, v29, v41, s[36:37]                  // 00000000CA34: D1000029 0092531D

000000000000ca3c <label_A53C>:
	s_add_u32 s83, s84, s83                                    // 00000000CA3C: 80535354
	s_nop 2                                                    // 00000000CA40: BF800002
	v_mov_b32_e32 v29, v34                                     // 00000000CA44: 7E3A0322
	v_max3_f32 v29, v34, v35, v29                              // 00000000CA48: D1D3001D 04764722
	v_max3_f32 v29, v36, v37, v29                              // 00000000CA50: D1D3001D 04764B24
	v_max3_f32 v29, v38, v39, v29                              // 00000000CA58: D1D3001D 04764F26
	v_max3_f32 v29, v40, v41, v29                              // 00000000CA60: D1D3001D 04765328
	v_mov_b32_e32 v28, v29                                     // 00000000CA68: 7E38031D
	v_mov_b32_e32 v29, v29                                     // 00000000CA6C: 7E3A031D
	s_nop 1                                                    // 00000000CA70: BF800001
	v_permlane16_swap_b32_e32 v28, v29                         // 00000000CA74: 7E38B31D
	v_mov_b32_e32 v31, v28                                     // 00000000CA78: 7E3E031C
	v_mov_b32_e32 v30, v29                                     // 00000000CA7C: 7E3C031D
	s_nop 1                                                    // 00000000CA80: BF800001
	v_permlane32_swap_b32_e32 v28, v29                         // 00000000CA84: 7E38B51D
	v_permlane32_swap_b32_e32 v30, v31                         // 00000000CA88: 7E3CB51F
	v_max3_f32 v29, v28, v29, v29                              // 00000000CA8C: D1D3001D 04763B1C
	v_max3_f32 v29, v30, v31, v29                              // 00000000CA94: D1D3001D 04763F1E
	v_mov_b32_e32 v28, 0xff800000                              // 00000000CA9C: 7E3802FF FF800000
	v_cmp_eq_u32_e64 s[36:37], v28, v2                         // 00000000CAA4: D0CA0024 0002051C
	v_max_f32_e32 v29, v29, v2                                 // 00000000CAAC: 163A051D
	v_sub_f32_e32 v16, v2, v29                                 // 00000000CAB0: 04203B02
	v_cndmask_b32_e64 v16, v16, 0, s[36:37]                    // 00000000CAB4: D1000010 00910110
	v_mov_b32_e32 v2, v29                                      // 00000000CABC: 7E04031D
	v_mul_f32_e32 v29, s5, v29                                 // 00000000CAC0: 0A3A3A05
	v_mul_f32_e32 v16, s5, v16                                 // 00000000CAC4: 0A202005
	v_exp_f32_e32 v16, v16                                     // 00000000CAC8: 7E204110
	v_fma_f32 v34, v34, s5, -v29                               // 00000000CACC: D1CB0022 84740B22
	v_fma_f32 v35, v35, s5, -v29                               // 00000000CAD4: D1CB0023 84740B23
	v_fma_f32 v36, v36, s5, -v29                               // 00000000CADC: D1CB0024 84740B24
	v_fma_f32 v37, v37, s5, -v29                               // 00000000CAE4: D1CB0025 84740B25
	v_fma_f32 v38, v38, s5, -v29                               // 00000000CAEC: D1CB0026 84740B26
	v_fma_f32 v39, v39, s5, -v29                               // 00000000CAF4: D1CB0027 84740B27
	v_fma_f32 v40, v40, s5, -v29                               // 00000000CAFC: D1CB0028 84740B28
	v_fma_f32 v41, v41, s5, -v29                               // 00000000CB04: D1CB0029 84740B29
	v_exp_f32_e32 v34, v34                                     // 00000000CB0C: 7E444122
	v_exp_f32_e32 v35, v35                                     // 00000000CB10: 7E464123
	v_exp_f32_e32 v36, v36                                     // 00000000CB14: 7E484124
	v_exp_f32_e32 v37, v37                                     // 00000000CB18: 7E4A4125
	v_exp_f32_e32 v38, v38                                     // 00000000CB1C: 7E4C4126
	v_exp_f32_e32 v39, v39                                     // 00000000CB20: 7E4E4127
	v_exp_f32_e32 v40, v40                                     // 00000000CB24: 7E504128
	v_exp_f32_e32 v41, v41                                     // 00000000CB28: 7E524129
	v_mul_f32_e32 v4, v16, v4                                  // 00000000CB2C: 0A080910
	v_mov_b32_e32 v28, v34                                     // 00000000CB30: 7E380322
	v_add_f32_e32 v28, v35, v28                                // 00000000CB34: 02383923
	v_add_f32_e32 v28, v36, v28                                // 00000000CB38: 02383924
	v_add_f32_e32 v28, v37, v28                                // 00000000CB3C: 02383925
	v_add_f32_e32 v28, v38, v28                                // 00000000CB40: 02383926
	v_add_f32_e32 v28, v39, v28                                // 00000000CB44: 02383927
	v_add_f32_e32 v28, v40, v28                                // 00000000CB48: 02383928
	v_add_f32_e32 v28, v41, v28                                // 00000000CB4C: 02383929
	v_add_f32_e32 v4, v28, v4                                  // 00000000CB50: 0208091C
	v_cvt_pk_bf16_f32 v34, v34, v35                            // 00000000CB54: D2680022 00024722
	v_cvt_pk_bf16_f32 v35, v36, v37                            // 00000000CB5C: D2680023 00024B24
	v_cvt_pk_bf16_f32 v36, v38, v39                            // 00000000CB64: D2680024 00024F26
	v_cvt_pk_bf16_f32 v37, v40, v41                            // 00000000CB6C: D2680025 00025328
	s_nop 0                                                    // 00000000CB74: BF800000
	v_permlane32_swap_b32_e32 v34, v36                         // 00000000CB78: 7E44B524
	v_permlane32_swap_b32_e32 v35, v37                         // 00000000CB7C: 7E46B525
	s_nop 0                                                    // 00000000CB80: BF800000
	v_permlane16_swap_b32_e32 v34, v36                         // 00000000CB84: 7E44B324
	v_permlane16_swap_b32_e32 v35, v37                         // 00000000CB88: 7E46B325
	v_mov_b32_e32 v30, v16                                     // 00000000CB8C: 7E3C0310
	v_mov_b32_e32 v31, v16                                     // 00000000CB90: 7E3E0310
	v_pk_mul_f32 v[50:51], v[30:31], v[50:51]                  // 00000000CB94: D3B14032 1802651E
	v_pk_mul_f32 v[52:53], v[30:31], v[52:53]                  // 00000000CB9C: D3B14034 1802691E
	v_pk_mul_f32 v[54:55], v[30:31], v[54:55]                  // 00000000CBA4: D3B14036 18026D1E
	v_pk_mul_f32 v[56:57], v[30:31], v[56:57]                  // 00000000CBAC: D3B14038 1802711E
	v_pk_mul_f32 v[58:59], v[30:31], v[58:59]                  // 00000000CBB4: D3B1403A 1802751E
	v_pk_mul_f32 v[60:61], v[30:31], v[60:61]                  // 00000000CBBC: D3B1403C 1802791E
	v_pk_mul_f32 v[62:63], v[30:31], v[62:63]                  // 00000000CBC4: D3B1403E 18027D1E
	v_pk_mul_f32 v[64:65], v[30:31], v[64:65]                  // 00000000CBCC: D3B14040 1802811E
	v_pk_mul_f32 v[66:67], v[30:31], v[66:67]                  // 00000000CBD4: D3B14042 1802851E
	v_pk_mul_f32 v[68:69], v[30:31], v[68:69]                  // 00000000CBDC: D3B14044 1802891E
	v_pk_mul_f32 v[70:71], v[30:31], v[70:71]                  // 00000000CBE4: D3B14046 18028D1E
	v_pk_mul_f32 v[72:73], v[30:31], v[72:73]                  // 00000000CBEC: D3B14048 1802911E
	v_pk_mul_f32 v[74:75], v[30:31], v[74:75]                  // 00000000CBF4: D3B1404A 1802951E
	v_pk_mul_f32 v[76:77], v[30:31], v[76:77]                  // 00000000CBFC: D3B1404C 1802991E
	v_pk_mul_f32 v[78:79], v[30:31], v[78:79]                  // 00000000CC04: D3B1404E 18029D1E
	v_pk_mul_f32 v[80:81], v[30:31], v[80:81]                  // 00000000CC0C: D3B14050 1802A11E
	v_pk_mul_f32 v[82:83], v[30:31], v[82:83]                  // 00000000CC14: D3B14052 1802A51E
	v_pk_mul_f32 v[84:85], v[30:31], v[84:85]                  // 00000000CC1C: D3B14054 1802A91E
	v_pk_mul_f32 v[86:87], v[30:31], v[86:87]                  // 00000000CC24: D3B14056 1802AD1E
	v_pk_mul_f32 v[88:89], v[30:31], v[88:89]                  // 00000000CC2C: D3B14058 1802B11E
	v_pk_mul_f32 v[90:91], v[30:31], v[90:91]                  // 00000000CC34: D3B1405A 1802B51E
	v_pk_mul_f32 v[92:93], v[30:31], v[92:93]                  // 00000000CC3C: D3B1405C 1802B91E
	v_pk_mul_f32 v[94:95], v[30:31], v[94:95]                  // 00000000CC44: D3B1405E 1802BD1E
	v_pk_mul_f32 v[96:97], v[30:31], v[96:97]                  // 00000000CC4C: D3B14060 1802C11E
	v_pk_mul_f32 v[98:99], v[30:31], v[98:99]                  // 00000000CC54: D3B14062 1802C51E
	v_pk_mul_f32 v[100:101], v[30:31], v[100:101]              // 00000000CC5C: D3B14064 1802C91E
	v_pk_mul_f32 v[102:103], v[30:31], v[102:103]              // 00000000CC64: D3B14066 1802CD1E
	v_pk_mul_f32 v[104:105], v[30:31], v[104:105]              // 00000000CC6C: D3B14068 1802D11E
	v_pk_mul_f32 v[106:107], v[30:31], v[106:107]              // 00000000CC74: D3B1406A 1802D51E
	v_pk_mul_f32 v[108:109], v[30:31], v[108:109]              // 00000000CC7C: D3B1406C 1802D91E
	v_pk_mul_f32 v[110:111], v[30:31], v[110:111]              // 00000000CC84: D3B1406E 1802DD1E
	v_pk_mul_f32 v[112:113], v[30:31], v[112:113]              // 00000000CC8C: D3B14070 1802E11E
	v_pk_mul_f32 v[114:115], v[30:31], v[114:115]              // 00000000CC94: D3B14072 1802E51E
	v_pk_mul_f32 v[116:117], v[30:31], v[116:117]              // 00000000CC9C: D3B14074 1802E91E
	v_pk_mul_f32 v[118:119], v[30:31], v[118:119]              // 00000000CCA4: D3B14076 1802ED1E
	v_pk_mul_f32 v[120:121], v[30:31], v[120:121]              // 00000000CCAC: D3B14078 1802F11E
	v_pk_mul_f32 v[122:123], v[30:31], v[122:123]              // 00000000CCB4: D3B1407A 1802F51E
	v_pk_mul_f32 v[124:125], v[30:31], v[124:125]              // 00000000CCBC: D3B1407C 1802F91E
	v_pk_mul_f32 v[126:127], v[30:31], v[126:127]              // 00000000CCC4: D3B1407E 1802FD1E
	v_pk_mul_f32 v[128:129], v[30:31], v[128:129]              // 00000000CCCC: D3B14080 1803011E
	v_pk_mul_f32 v[130:131], v[30:31], v[130:131]              // 00000000CCD4: D3B14082 1803051E
	v_pk_mul_f32 v[132:133], v[30:31], v[132:133]              // 00000000CCDC: D3B14084 1803091E
	v_pk_mul_f32 v[134:135], v[30:31], v[134:135]              // 00000000CCE4: D3B14086 18030D1E
	v_pk_mul_f32 v[136:137], v[30:31], v[136:137]              // 00000000CCEC: D3B14088 1803111E
	v_pk_mul_f32 v[138:139], v[30:31], v[138:139]              // 00000000CCF4: D3B1408A 1803151E
	v_pk_mul_f32 v[140:141], v[30:31], v[140:141]              // 00000000CCFC: D3B1408C 1803191E
	v_pk_mul_f32 v[142:143], v[30:31], v[142:143]              // 00000000CD04: D3B1408E 18031D1E
	v_pk_mul_f32 v[144:145], v[30:31], v[144:145]              // 00000000CD0C: D3B14090 1803211E
	v_pk_mul_f32 v[146:147], v[30:31], v[146:147]              // 00000000CD14: D3B14092 1803251E
	v_pk_mul_f32 v[148:149], v[30:31], v[148:149]              // 00000000CD1C: D3B14094 1803291E
	v_pk_mul_f32 v[150:151], v[30:31], v[150:151]              // 00000000CD24: D3B14096 18032D1E
	v_pk_mul_f32 v[152:153], v[30:31], v[152:153]              // 00000000CD2C: D3B14098 1803311E
	v_pk_mul_f32 v[154:155], v[30:31], v[154:155]              // 00000000CD34: D3B1409A 1803351E
	v_pk_mul_f32 v[156:157], v[30:31], v[156:157]              // 00000000CD3C: D3B1409C 1803391E
	v_pk_mul_f32 v[158:159], v[30:31], v[158:159]              // 00000000CD44: D3B1409E 18033D1E
	v_pk_mul_f32 v[160:161], v[30:31], v[160:161]              // 00000000CD4C: D3B140A0 1803411E
	v_pk_mul_f32 v[162:163], v[30:31], v[162:163]              // 00000000CD54: D3B140A2 1803451E
	v_pk_mul_f32 v[164:165], v[30:31], v[164:165]              // 00000000CD5C: D3B140A4 1803491E
	v_pk_mul_f32 v[166:167], v[30:31], v[166:167]              // 00000000CD64: D3B140A6 18034D1E
	v_pk_mul_f32 v[168:169], v[30:31], v[168:169]              // 00000000CD6C: D3B140A8 1803511E
	v_pk_mul_f32 v[170:171], v[30:31], v[170:171]              // 00000000CD74: D3B140AA 1803551E
	v_pk_mul_f32 v[172:173], v[30:31], v[172:173]              // 00000000CD7C: D3B140AC 1803591E
	v_pk_mul_f32 v[174:175], v[30:31], v[174:175]              // 00000000CD84: D3B140AE 18035D1E
	v_pk_mul_f32 v[176:177], v[30:31], v[176:177]              // 00000000CD8C: D3B140B0 1803611E
	s_waitcnt lgkmcnt(0)                                       // 00000000CD94: BF8CC07F
	v_mfma_f32_16x16x32_bf16 v[50:53], a[144:147], v[34:37], v[50:53]// 00000000CD98: D3B50032 0CCA4590
	v_mfma_f32_16x16x32_bf16 v[54:57], a[148:151], v[34:37], v[54:57]// 00000000CDA0: D3B50036 0CDA4594
	v_mfma_f32_16x16x32_bf16 v[58:61], a[152:155], v[34:37], v[58:61]// 00000000CDA8: D3B5003A 0CEA4598
	v_mfma_f32_16x16x32_bf16 v[62:65], a[156:159], v[34:37], v[62:65]// 00000000CDB0: D3B5003E 0CFA459C
	v_mfma_f32_16x16x32_bf16 v[66:69], a[160:163], v[34:37], v[66:69]// 00000000CDB8: D3B50042 0D0A45A0
	v_mfma_f32_16x16x32_bf16 v[70:73], a[164:167], v[34:37], v[70:73]// 00000000CDC0: D3B50046 0D1A45A4
	v_mfma_f32_16x16x32_bf16 v[74:77], a[168:171], v[34:37], v[74:77]// 00000000CDC8: D3B5004A 0D2A45A8
	v_mfma_f32_16x16x32_bf16 v[78:81], a[172:175], v[34:37], v[78:81]// 00000000CDD0: D3B5004E 0D3A45AC
	v_mfma_f32_16x16x32_bf16 v[82:85], a[176:179], v[34:37], v[82:85]// 00000000CDD8: D3B50052 0D4A45B0
	v_mfma_f32_16x16x32_bf16 v[86:89], a[180:183], v[34:37], v[86:89]// 00000000CDE0: D3B50056 0D5A45B4
	v_mfma_f32_16x16x32_bf16 v[90:93], a[184:187], v[34:37], v[90:93]// 00000000CDE8: D3B5005A 0D6A45B8
	ds_read_b64_tr_b16 a[144:145], v12 offset:8192             // 00000000CDF0: DBC62000 9000000C
	ds_read_b64_tr_b16 a[146:147], v12 offset:8448             // 00000000CDF8: DBC62100 9200000C
	ds_read_b64_tr_b16 a[148:149], v13 offset:8192             // 00000000CE00: DBC62000 9400000D
	ds_read_b64_tr_b16 a[150:151], v13 offset:8448             // 00000000CE08: DBC62100 9600000D
	v_mfma_f32_16x16x32_bf16 v[94:97], a[188:191], v[34:37], v[94:97]// 00000000CE10: D3B5005E 0D7A45BC
	ds_read_b64_tr_b16 a[152:153], v12 offset:9216             // 00000000CE18: DBC62400 9800000C
	ds_read_b64_tr_b16 a[154:155], v12 offset:9472             // 00000000CE20: DBC62500 9A00000C
	ds_read_b64_tr_b16 a[156:157], v13 offset:9216             // 00000000CE28: DBC62400 9C00000D
	ds_read_b64_tr_b16 a[158:159], v13 offset:9472             // 00000000CE30: DBC62500 9E00000D
	v_mfma_f32_16x16x32_bf16 v[98:101], a[192:195], v[34:37], v[98:101]// 00000000CE38: D3B50062 0D8A45C0
	ds_read_b64_tr_b16 a[160:161], v12 offset:10240            // 00000000CE40: DBC62800 A000000C
	ds_read_b64_tr_b16 a[162:163], v12 offset:10496            // 00000000CE48: DBC62900 A200000C
	ds_read_b64_tr_b16 a[164:165], v13 offset:10240            // 00000000CE50: DBC62800 A400000D
	ds_read_b64_tr_b16 a[166:167], v13 offset:10496            // 00000000CE58: DBC62900 A600000D
	v_mfma_f32_16x16x32_bf16 v[102:105], a[196:199], v[34:37], v[102:105]// 00000000CE60: D3B50066 0D9A45C4
	ds_read_b64_tr_b16 a[168:169], v12 offset:11264            // 00000000CE68: DBC62C00 A800000C
	ds_read_b64_tr_b16 a[170:171], v12 offset:11520            // 00000000CE70: DBC62D00 AA00000C
	ds_read_b64_tr_b16 a[172:173], v13 offset:11264            // 00000000CE78: DBC62C00 AC00000D
	ds_read_b64_tr_b16 a[174:175], v13 offset:11520            // 00000000CE80: DBC62D00 AE00000D
	v_mfma_f32_16x16x32_bf16 v[106:109], a[200:203], v[34:37], v[106:109]// 00000000CE88: D3B5006A 0DAA45C8
	ds_read_b64_tr_b16 a[176:177], v12 offset:12288            // 00000000CE90: DBC63000 B000000C
	ds_read_b64_tr_b16 a[178:179], v12 offset:12544            // 00000000CE98: DBC63100 B200000C
	ds_read_b64_tr_b16 a[180:181], v13 offset:12288            // 00000000CEA0: DBC63000 B400000D
	ds_read_b64_tr_b16 a[182:183], v13 offset:12544            // 00000000CEA8: DBC63100 B600000D
	v_mfma_f32_16x16x32_bf16 v[110:113], a[204:207], v[34:37], v[110:113]// 00000000CEB0: D3B5006E 0DBA45CC
	ds_read_b64_tr_b16 a[184:185], v12 offset:13312            // 00000000CEB8: DBC63400 B800000C
	ds_read_b64_tr_b16 a[186:187], v12 offset:13568            // 00000000CEC0: DBC63500 BA00000C
	ds_read_b64_tr_b16 a[188:189], v13 offset:13312            // 00000000CEC8: DBC63400 BC00000D
	ds_read_b64_tr_b16 a[190:191], v13 offset:13568            // 00000000CED0: DBC63500 BE00000D
	ds_read_b64_tr_b16 a[192:193], v12 offset:14336            // 00000000CED8: DBC63800 C000000C
	ds_read_b64_tr_b16 a[194:195], v12 offset:14592            // 00000000CEE0: DBC63900 C200000C
	ds_read_b64_tr_b16 a[196:197], v13 offset:14336            // 00000000CEE8: DBC63800 C400000D
	ds_read_b64_tr_b16 a[198:199], v13 offset:14592            // 00000000CEF0: DBC63900 C600000D
	ds_read_b64_tr_b16 a[200:201], v12 offset:15360            // 00000000CEF8: DBC63C00 C800000C
	ds_read_b64_tr_b16 a[202:203], v12 offset:15616            // 00000000CF00: DBC63D00 CA00000C
	ds_read_b64_tr_b16 a[204:205], v13 offset:15360            // 00000000CF08: DBC63C00 CC00000D
	ds_read_b64_tr_b16 a[206:207], v13 offset:15616            // 00000000CF10: DBC63D00 CE00000D
	s_waitcnt lgkmcnt(0)                                       // 00000000CF18: BF8CC07F
	v_mfma_f32_16x16x32_bf16 v[114:117], a[144:147], v[34:37], v[114:117]// 00000000CF1C: D3B50072 0DCA4590
	v_mfma_f32_16x16x32_bf16 v[118:121], a[148:151], v[34:37], v[118:121]// 00000000CF24: D3B50076 0DDA4594
	v_mfma_f32_16x16x32_bf16 v[122:125], a[152:155], v[34:37], v[122:125]// 00000000CF2C: D3B5007A 0DEA4598
	v_mfma_f32_16x16x32_bf16 v[126:129], a[156:159], v[34:37], v[126:129]// 00000000CF34: D3B5007E 0DFA459C
	v_mfma_f32_16x16x32_bf16 v[130:133], a[160:163], v[34:37], v[130:133]// 00000000CF3C: D3B50082 0E0A45A0
	v_mfma_f32_16x16x32_bf16 v[134:137], a[164:167], v[34:37], v[134:137]// 00000000CF44: D3B50086 0E1A45A4
	v_mfma_f32_16x16x32_bf16 v[138:141], a[168:171], v[34:37], v[138:141]// 00000000CF4C: D3B5008A 0E2A45A8
	v_mfma_f32_16x16x32_bf16 v[142:145], a[172:175], v[34:37], v[142:145]// 00000000CF54: D3B5008E 0E3A45AC
	v_mfma_f32_16x16x32_bf16 v[146:149], a[176:179], v[34:37], v[146:149]// 00000000CF5C: D3B50092 0E4A45B0
	v_mfma_f32_16x16x32_bf16 v[150:153], a[180:183], v[34:37], v[150:153]// 00000000CF64: D3B50096 0E5A45B4
	v_mfma_f32_16x16x32_bf16 v[154:157], a[184:187], v[34:37], v[154:157]// 00000000CF6C: D3B5009A 0E6A45B8
	v_mfma_f32_16x16x32_bf16 v[158:161], a[188:191], v[34:37], v[158:161]// 00000000CF74: D3B5009E 0E7A45BC
	v_mfma_f32_16x16x32_bf16 v[162:165], a[192:195], v[34:37], v[162:165]// 00000000CF7C: D3B500A2 0E8A45C0
	v_mfma_f32_16x16x32_bf16 v[166:169], a[196:199], v[34:37], v[166:169]// 00000000CF84: D3B500A6 0E9A45C4
	v_mfma_f32_16x16x32_bf16 v[170:173], a[200:203], v[34:37], v[170:173]// 00000000CF8C: D3B500AA 0EAA45C8
	v_mfma_f32_16x16x32_bf16 v[174:177], a[204:207], v[34:37], v[174:177]// 00000000CF94: D3B500AE 0EBA45CC
	s_nop 8                                                    // 00000000CF9C: BF800008
	s_branch label_B6B8                                        // 00000000CFA0: BF820283

000000000000cfa4 <label_AAA4>:
	s_waitcnt lgkmcnt(0)                                       // 00000000CFA4: BF8CC07F
	v_mfma_f32_16x16x32_bf16 v[42:45], a[72:75], a[0:3], 0     // 00000000CFA8: D3B5002A 1A020148
	v_mfma_f32_16x16x32_bf16 v[42:45], a[76:79], a[4:7], v[42:45]// 00000000CFB0: D3B5002A 1CAA094C
	v_mfma_f32_16x16x32_bf16 v[42:45], a[80:83], a[8:11], v[42:45]// 00000000CFB8: D3B5002A 1CAA1150
	v_mfma_f32_16x16x32_bf16 v[42:45], a[84:87], a[12:15], v[42:45]// 00000000CFC0: D3B5002A 1CAA1954
	v_mfma_f32_16x16x32_bf16 v[42:45], a[88:91], a[16:19], v[42:45]// 00000000CFC8: D3B5002A 1CAA2158
	v_mfma_f32_16x16x32_bf16 v[42:45], a[92:95], a[20:23], v[42:45]// 00000000CFD0: D3B5002A 1CAA295C
	v_mfma_f32_16x16x32_bf16 v[42:45], a[96:99], a[24:27], v[42:45]// 00000000CFD8: D3B5002A 1CAA3160
	v_mfma_f32_16x16x32_bf16 v[42:45], a[100:103], a[28:31], v[42:45]// 00000000CFE0: D3B5002A 1CAA3964
	ds_read_b128 a[72:75], v21 offset:18432                    // 00000000CFE8: DBFE4800 48000015
	ds_read_b128 a[76:79], v21 offset:19456                    // 00000000CFF0: DBFE4C00 4C000015
	v_mfma_f32_16x16x32_bf16 v[42:45], a[104:107], a[32:35], v[42:45]// 00000000CFF8: D3B5002A 1CAA4168
	v_mfma_f32_16x16x32_bf16 v[42:45], a[108:111], a[36:39], v[42:45]// 00000000D000: D3B5002A 1CAA496C
	ds_read_b128 a[80:83], v21 offset:20480                    // 00000000D008: DBFE5000 50000015
	ds_read_b128 a[84:87], v21 offset:21504                    // 00000000D010: DBFE5400 54000015
	v_mfma_f32_16x16x32_bf16 v[42:45], a[112:115], a[40:43], v[42:45]// 00000000D018: D3B5002A 1CAA5170
	v_mfma_f32_16x16x32_bf16 v[42:45], a[116:119], a[44:47], v[42:45]// 00000000D020: D3B5002A 1CAA5974
	ds_read_b128 a[88:91], v21 offset:22528                    // 00000000D028: DBFE5800 58000015
	ds_read_b128 a[92:95], v21 offset:23552                    // 00000000D030: DBFE5C00 5C000015
	v_mfma_f32_16x16x32_bf16 v[42:45], a[120:123], a[48:51], v[42:45]// 00000000D038: D3B5002A 1CAA6178
	v_mfma_f32_16x16x32_bf16 v[42:45], a[124:127], a[52:55], v[42:45]// 00000000D040: D3B5002A 1CAA697C
	ds_read_b128 a[96:99], v21 offset:24576                    // 00000000D048: DBFE6000 60000015
	ds_read_b128 a[100:103], v21 offset:25600                  // 00000000D050: DBFE6400 64000015
	v_mfma_f32_16x16x32_bf16 v[42:45], a[128:131], a[56:59], v[42:45]// 00000000D058: D3B5002A 1CAA7180
	v_mfma_f32_16x16x32_bf16 v[42:45], a[132:135], a[60:63], v[42:45]// 00000000D060: D3B5002A 1CAA7984
	ds_read_b128 a[104:107], v21 offset:26624                  // 00000000D068: DBFE6800 68000015
	ds_read_b128 a[108:111], v21 offset:27648                  // 00000000D070: DBFE6C00 6C000015
	v_mfma_f32_16x16x32_bf16 v[42:45], a[136:139], a[64:67], v[42:45]// 00000000D078: D3B5002A 1CAA8188
	v_mfma_f32_16x16x32_bf16 v[42:45], a[140:143], a[68:71], v[42:45]// 00000000D080: D3B5002A 1CAA898C
	ds_read_b128 a[112:115], v21 offset:28672                  // 00000000D088: DBFE7000 70000015
	ds_read_b128 a[116:119], v21 offset:29696                  // 00000000D090: DBFE7400 74000015
	ds_read_b128 a[120:123], v21 offset:30720                  // 00000000D098: DBFE7800 78000015
	ds_read_b128 a[124:127], v21 offset:31744                  // 00000000D0A0: DBFE7C00 7C000015
	ds_read_b128 a[128:131], v21 offset:32768                  // 00000000D0A8: DBFE8000 80000015
	ds_read_b128 a[132:135], v21 offset:33792                  // 00000000D0B0: DBFE8400 84000015
	ds_read_b128 a[136:139], v21 offset:34816                  // 00000000D0B8: DBFE8800 88000015
	ds_read_b128 a[140:143], v21 offset:35840                  // 00000000D0C0: DBFE8C00 8C000015
	s_waitcnt lgkmcnt(0)                                       // 00000000D0C8: BF8CC07F
	v_mfma_f32_16x16x32_bf16 v[46:49], a[72:75], a[0:3], 0     // 00000000D0CC: D3B5002E 1A020148
	ds_read_b64_tr_b16 a[144:145], v14                         // 00000000D0D4: DBC60000 9000000E
	ds_read_b64_tr_b16 a[146:147], v14 offset:256              // 00000000D0DC: DBC60100 9200000E
	ds_read_b64_tr_b16 a[148:149], v15                         // 00000000D0E4: DBC60000 9400000F
	ds_read_b64_tr_b16 a[150:151], v15 offset:256              // 00000000D0EC: DBC60100 9600000F
	v_mfma_f32_16x16x32_bf16 v[46:49], a[76:79], a[4:7], v[46:49]// 00000000D0F4: D3B5002E 1CBA094C
	ds_read_b64_tr_b16 a[152:153], v14 offset:1024             // 00000000D0FC: DBC60400 9800000E
	ds_read_b64_tr_b16 a[154:155], v14 offset:1280             // 00000000D104: DBC60500 9A00000E
	ds_read_b64_tr_b16 a[156:157], v15 offset:1024             // 00000000D10C: DBC60400 9C00000F
	ds_read_b64_tr_b16 a[158:159], v15 offset:1280             // 00000000D114: DBC60500 9E00000F
	v_mfma_f32_16x16x32_bf16 v[46:49], a[80:83], a[8:11], v[46:49]// 00000000D11C: D3B5002E 1CBA1150
	ds_read_b64_tr_b16 a[160:161], v14 offset:2048             // 00000000D124: DBC60800 A000000E
	ds_read_b64_tr_b16 a[162:163], v14 offset:2304             // 00000000D12C: DBC60900 A200000E
	ds_read_b64_tr_b16 a[164:165], v15 offset:2048             // 00000000D134: DBC60800 A400000F
	ds_read_b64_tr_b16 a[166:167], v15 offset:2304             // 00000000D13C: DBC60900 A600000F
	v_mfma_f32_16x16x32_bf16 v[46:49], a[84:87], a[12:15], v[46:49]// 00000000D144: D3B5002E 1CBA1954
	ds_read_b64_tr_b16 a[168:169], v14 offset:3072             // 00000000D14C: DBC60C00 A800000E
	ds_read_b64_tr_b16 a[170:171], v14 offset:3328             // 00000000D154: DBC60D00 AA00000E
	ds_read_b64_tr_b16 a[172:173], v15 offset:3072             // 00000000D15C: DBC60C00 AC00000F
	ds_read_b64_tr_b16 a[174:175], v15 offset:3328             // 00000000D164: DBC60D00 AE00000F
	v_mfma_f32_16x16x32_bf16 v[46:49], a[88:91], a[16:19], v[46:49]// 00000000D16C: D3B5002E 1CBA2158
	ds_read_b64_tr_b16 a[176:177], v14 offset:4096             // 00000000D174: DBC61000 B000000E
	ds_read_b64_tr_b16 a[178:179], v14 offset:4352             // 00000000D17C: DBC61100 B200000E
	ds_read_b64_tr_b16 a[180:181], v15 offset:4096             // 00000000D184: DBC61000 B400000F
	ds_read_b64_tr_b16 a[182:183], v15 offset:4352             // 00000000D18C: DBC61100 B600000F
	v_mfma_f32_16x16x32_bf16 v[46:49], a[92:95], a[20:23], v[46:49]// 00000000D194: D3B5002E 1CBA295C
	ds_read_b64_tr_b16 a[184:185], v14 offset:5120             // 00000000D19C: DBC61400 B800000E
	ds_read_b64_tr_b16 a[186:187], v14 offset:5376             // 00000000D1A4: DBC61500 BA00000E
	ds_read_b64_tr_b16 a[188:189], v15 offset:5120             // 00000000D1AC: DBC61400 BC00000F
	ds_read_b64_tr_b16 a[190:191], v15 offset:5376             // 00000000D1B4: DBC61500 BE00000F
	v_mfma_f32_16x16x32_bf16 v[46:49], a[96:99], a[24:27], v[46:49]// 00000000D1BC: D3B5002E 1CBA3160
	ds_read_b64_tr_b16 a[192:193], v14 offset:6144             // 00000000D1C4: DBC61800 C000000E
	ds_read_b64_tr_b16 a[194:195], v14 offset:6400             // 00000000D1CC: DBC61900 C200000E
	ds_read_b64_tr_b16 a[196:197], v15 offset:6144             // 00000000D1D4: DBC61800 C400000F
	ds_read_b64_tr_b16 a[198:199], v15 offset:6400             // 00000000D1DC: DBC61900 C600000F
	v_mfma_f32_16x16x32_bf16 v[46:49], a[100:103], a[28:31], v[46:49]// 00000000D1E4: D3B5002E 1CBA3964
	ds_read_b64_tr_b16 a[200:201], v14 offset:7168             // 00000000D1EC: DBC61C00 C800000E
	ds_read_b64_tr_b16 a[202:203], v14 offset:7424             // 00000000D1F4: DBC61D00 CA00000E
	ds_read_b64_tr_b16 a[204:205], v15 offset:7168             // 00000000D1FC: DBC61C00 CC00000F
	ds_read_b64_tr_b16 a[206:207], v15 offset:7424             // 00000000D204: DBC61D00 CE00000F
	v_mfma_f32_16x16x32_bf16 v[46:49], a[104:107], a[32:35], v[46:49]// 00000000D20C: D3B5002E 1CBA4168
	v_mfma_f32_16x16x32_bf16 v[46:49], a[108:111], a[36:39], v[46:49]// 00000000D214: D3B5002E 1CBA496C
	v_mfma_f32_16x16x32_bf16 v[46:49], a[112:115], a[40:43], v[46:49]// 00000000D21C: D3B5002E 1CBA5170
	v_mfma_f32_16x16x32_bf16 v[46:49], a[116:119], a[44:47], v[46:49]// 00000000D224: D3B5002E 1CBA5974
	v_mfma_f32_16x16x32_bf16 v[46:49], a[120:123], a[48:51], v[46:49]// 00000000D22C: D3B5002E 1CBA6178
	v_mfma_f32_16x16x32_bf16 v[46:49], a[124:127], a[52:55], v[46:49]// 00000000D234: D3B5002E 1CBA697C
	v_mfma_f32_16x16x32_bf16 v[46:49], a[128:131], a[56:59], v[46:49]// 00000000D23C: D3B5002E 1CBA7180
	v_mfma_f32_16x16x32_bf16 v[46:49], a[132:135], a[60:63], v[46:49]// 00000000D244: D3B5002E 1CBA7984
	v_mfma_f32_16x16x32_bf16 v[46:49], a[136:139], a[64:67], v[46:49]// 00000000D24C: D3B5002E 1CBA8188
	v_mfma_f32_16x16x32_bf16 v[46:49], a[140:143], a[68:71], v[46:49]// 00000000D254: D3B5002E 1CBA898C
	s_nop 8                                                    // 00000000D25C: BF800008
	s_and_b32 s56, s48, 0xff                                   // 00000000D260: 8638FF30 000000FF
	v_mov_b32_e32 v29, s56                                     // 00000000D268: 7E3A0238
	v_lshrrev_b32_e32 v18, 4, v0                               // 00000000D26C: 20240084
	v_mul_i32_i24_e32 v18, 4, v18                              // 00000000D270: 0C242484
	v_add_u32_e32 v19, 1, v18                                  // 00000000D274: 68262481
	v_add_u32_e32 v20, 2, v18                                  // 00000000D278: 68282482
	v_add_u32_e32 v21, 3, v18                                  // 00000000D27C: 682A2483
	v_mov_b32_e32 v28, 0xff800000                              // 00000000D280: 7E3802FF FF800000
	v_cmp_lt_u32_e64 s[36:37], v18, v29                        // 00000000D288: D0C90024 00023B12
	v_add_u32_e32 v18, 16, v18                                 // 00000000D290: 68242490
	s_nop 0                                                    // 00000000D294: BF800000
	v_cndmask_b32_e64 v42, v28, v42, s[36:37]                  // 00000000D298: D100002A 0092551C
	v_cmp_lt_u32_e64 s[36:37], v19, v29                        // 00000000D2A0: D0C90024 00023B13
	v_add_u32_e32 v19, 16, v19                                 // 00000000D2A8: 68262690
	s_nop 0                                                    // 00000000D2AC: BF800000
	v_cndmask_b32_e64 v43, v28, v43, s[36:37]                  // 00000000D2B0: D100002B 0092571C
	v_cmp_lt_u32_e64 s[36:37], v20, v29                        // 00000000D2B8: D0C90024 00023B14
	v_add_u32_e32 v20, 16, v20                                 // 00000000D2C0: 68282890
	s_nop 0                                                    // 00000000D2C4: BF800000
	v_cndmask_b32_e64 v44, v28, v44, s[36:37]                  // 00000000D2C8: D100002C 0092591C
	v_cmp_lt_u32_e64 s[36:37], v21, v29                        // 00000000D2D0: D0C90024 00023B15
	v_add_u32_e32 v21, 16, v21                                 // 00000000D2D8: 682A2A90
	s_nop 0                                                    // 00000000D2DC: BF800000
	v_cndmask_b32_e64 v45, v28, v45, s[36:37]                  // 00000000D2E0: D100002D 00925B1C
	v_cmp_lt_u32_e64 s[36:37], v18, v29                        // 00000000D2E8: D0C90024 00023B12
	v_add_u32_e32 v18, 16, v18                                 // 00000000D2F0: 68242490
	s_nop 0                                                    // 00000000D2F4: BF800000
	v_cndmask_b32_e64 v46, v28, v46, s[36:37]                  // 00000000D2F8: D100002E 00925D1C
	v_cmp_lt_u32_e64 s[36:37], v19, v29                        // 00000000D300: D0C90024 00023B13
	v_add_u32_e32 v19, 16, v19                                 // 00000000D308: 68262690
	s_nop 0                                                    // 00000000D30C: BF800000
	v_cndmask_b32_e64 v47, v28, v47, s[36:37]                  // 00000000D310: D100002F 00925F1C
	v_cmp_lt_u32_e64 s[36:37], v20, v29                        // 00000000D318: D0C90024 00023B14
	v_add_u32_e32 v20, 16, v20                                 // 00000000D320: 68282890
	s_nop 0                                                    // 00000000D324: BF800000
	v_cndmask_b32_e64 v48, v28, v48, s[36:37]                  // 00000000D328: D1000030 0092611C
	v_cmp_lt_u32_e64 s[36:37], v21, v29                        // 00000000D330: D0C90024 00023B15
	v_add_u32_e32 v21, 16, v21                                 // 00000000D338: 682A2A90
	s_nop 0                                                    // 00000000D33C: BF800000
	v_cndmask_b32_e64 v49, v28, v49, s[36:37]                  // 00000000D340: D1000031 0092631C
	s_cmp_le_i32 s83, s82                                      // 00000000D348: BF055253
	s_cbranch_scc1 label_AF48                                  // 00000000D34C: BF85003E
	v_mov_b32_e32 v28, s82                                     // 00000000D350: 7E380252
	s_lshl_b32 s56, s2, 1                                      // 00000000D354: 8E388102
	s_lshr_b32 s57, s7, 1                                      // 00000000D358: 8F398107
	s_add_u32 s56, s56, s57                                    // 00000000D35C: 80383938
	v_add_u32_e32 v28, s56, v28                                // 00000000D360: 68383838
	s_sub_u32 s56, s83, 31                                     // 00000000D364: 80B89F53
	v_lshrrev_b32_e32 v18, 4, v0                               // 00000000D368: 20240084
	v_mul_i32_i24_e32 v18, 4, v18                              // 00000000D36C: 0C242484
	v_add_u32_e32 v18, s56, v18                                // 00000000D370: 68242438
	v_add_u32_e32 v19, 1, v18                                  // 00000000D374: 68262481
	v_add_u32_e32 v20, 2, v18                                  // 00000000D378: 68282482
	v_add_u32_e32 v21, 3, v18                                  // 00000000D37C: 682A2483
	v_mov_b32_e32 v29, 0xff800000                              // 00000000D380: 7E3A02FF FF800000
	v_cmp_le_u32_e64 s[36:37], v18, v28                        // 00000000D388: D0CB0024 00023912
	v_add_u32_e32 v18, 16, v18                                 // 00000000D390: 68242490
	s_nop 0                                                    // 00000000D394: BF800000
	v_cndmask_b32_e64 v42, v29, v42, s[36:37]                  // 00000000D398: D100002A 0092551D
	v_cmp_le_u32_e64 s[36:37], v19, v28                        // 00000000D3A0: D0CB0024 00023913
	v_add_u32_e32 v19, 16, v19                                 // 00000000D3A8: 68262690
	s_nop 0                                                    // 00000000D3AC: BF800000
	v_cndmask_b32_e64 v43, v29, v43, s[36:37]                  // 00000000D3B0: D100002B 0092571D
	v_cmp_le_u32_e64 s[36:37], v20, v28                        // 00000000D3B8: D0CB0024 00023914
	v_add_u32_e32 v20, 16, v20                                 // 00000000D3C0: 68282890
	s_nop 0                                                    // 00000000D3C4: BF800000
	v_cndmask_b32_e64 v44, v29, v44, s[36:37]                  // 00000000D3C8: D100002C 0092591D
	v_cmp_le_u32_e64 s[36:37], v21, v28                        // 00000000D3D0: D0CB0024 00023915
	v_add_u32_e32 v21, 16, v21                                 // 00000000D3D8: 682A2A90
	s_nop 0                                                    // 00000000D3DC: BF800000
	v_cndmask_b32_e64 v45, v29, v45, s[36:37]                  // 00000000D3E0: D100002D 00925B1D
	v_cmp_le_u32_e64 s[36:37], v18, v28                        // 00000000D3E8: D0CB0024 00023912
	v_add_u32_e32 v18, 16, v18                                 // 00000000D3F0: 68242490
	s_nop 0                                                    // 00000000D3F4: BF800000
	v_cndmask_b32_e64 v46, v29, v46, s[36:37]                  // 00000000D3F8: D100002E 00925D1D
	v_cmp_le_u32_e64 s[36:37], v19, v28                        // 00000000D400: D0CB0024 00023913
	v_add_u32_e32 v19, 16, v19                                 // 00000000D408: 68262690
	s_nop 0                                                    // 00000000D40C: BF800000
	v_cndmask_b32_e64 v47, v29, v47, s[36:37]                  // 00000000D410: D100002F 00925F1D
	v_cmp_le_u32_e64 s[36:37], v20, v28                        // 00000000D418: D0CB0024 00023914
	v_add_u32_e32 v20, 16, v20                                 // 00000000D420: 68282890
	s_nop 0                                                    // 00000000D424: BF800000
	v_cndmask_b32_e64 v48, v29, v48, s[36:37]                  // 00000000D428: D1000030 0092611D
	v_cmp_le_u32_e64 s[36:37], v21, v28                        // 00000000D430: D0CB0024 00023915
	v_add_u32_e32 v21, 16, v21                                 // 00000000D438: 682A2A90
	s_nop 0                                                    // 00000000D43C: BF800000
	v_cndmask_b32_e64 v49, v29, v49, s[36:37]                  // 00000000D440: D1000031 0092631D

000000000000d448 <label_AF48>:
	s_add_u32 s83, s84, s83                                    // 00000000D448: 80535354
	s_nop 2                                                    // 00000000D44C: BF800002
	v_mov_b32_e32 v29, v42                                     // 00000000D450: 7E3A032A
	v_max3_f32 v29, v42, v43, v29                              // 00000000D454: D1D3001D 0476572A
	v_max3_f32 v29, v44, v45, v29                              // 00000000D45C: D1D3001D 04765B2C
	v_max3_f32 v29, v46, v47, v29                              // 00000000D464: D1D3001D 04765F2E
	v_max3_f32 v29, v48, v49, v29                              // 00000000D46C: D1D3001D 04766330
	v_mov_b32_e32 v28, v29                                     // 00000000D474: 7E38031D
	v_mov_b32_e32 v29, v29                                     // 00000000D478: 7E3A031D
	s_nop 1                                                    // 00000000D47C: BF800001
	v_permlane16_swap_b32_e32 v28, v29                         // 00000000D480: 7E38B31D
	v_mov_b32_e32 v31, v28                                     // 00000000D484: 7E3E031C
	v_mov_b32_e32 v30, v29                                     // 00000000D488: 7E3C031D
	s_nop 1                                                    // 00000000D48C: BF800001
	v_permlane32_swap_b32_e32 v28, v29                         // 00000000D490: 7E38B51D
	v_permlane32_swap_b32_e32 v30, v31                         // 00000000D494: 7E3CB51F
	v_max3_f32 v29, v28, v29, v29                              // 00000000D498: D1D3001D 04763B1C
	v_max3_f32 v29, v30, v31, v29                              // 00000000D4A0: D1D3001D 04763F1E
	v_mov_b32_e32 v28, 0xff800000                              // 00000000D4A8: 7E3802FF FF800000
	v_cmp_eq_u32_e64 s[36:37], v28, v2                         // 00000000D4B0: D0CA0024 0002051C
	v_max_f32_e32 v29, v29, v2                                 // 00000000D4B8: 163A051D
	v_sub_f32_e32 v16, v2, v29                                 // 00000000D4BC: 04203B02
	v_cndmask_b32_e64 v16, v16, 0, s[36:37]                    // 00000000D4C0: D1000010 00910110
	v_mov_b32_e32 v2, v29                                      // 00000000D4C8: 7E04031D
	v_mul_f32_e32 v29, s5, v29                                 // 00000000D4CC: 0A3A3A05
	v_mul_f32_e32 v16, s5, v16                                 // 00000000D4D0: 0A202005
	v_exp_f32_e32 v16, v16                                     // 00000000D4D4: 7E204110
	v_fma_f32 v42, v42, s5, -v29                               // 00000000D4D8: D1CB002A 84740B2A
	v_fma_f32 v43, v43, s5, -v29                               // 00000000D4E0: D1CB002B 84740B2B
	v_fma_f32 v44, v44, s5, -v29                               // 00000000D4E8: D1CB002C 84740B2C
	v_fma_f32 v45, v45, s5, -v29                               // 00000000D4F0: D1CB002D 84740B2D
	v_fma_f32 v46, v46, s5, -v29                               // 00000000D4F8: D1CB002E 84740B2E
	v_fma_f32 v47, v47, s5, -v29                               // 00000000D500: D1CB002F 84740B2F
	v_fma_f32 v48, v48, s5, -v29                               // 00000000D508: D1CB0030 84740B30
	v_fma_f32 v49, v49, s5, -v29                               // 00000000D510: D1CB0031 84740B31
	v_exp_f32_e32 v42, v42                                     // 00000000D518: 7E54412A
	v_exp_f32_e32 v43, v43                                     // 00000000D51C: 7E56412B
	v_exp_f32_e32 v44, v44                                     // 00000000D520: 7E58412C
	v_exp_f32_e32 v45, v45                                     // 00000000D524: 7E5A412D
	v_exp_f32_e32 v46, v46                                     // 00000000D528: 7E5C412E
	v_exp_f32_e32 v47, v47                                     // 00000000D52C: 7E5E412F
	v_exp_f32_e32 v48, v48                                     // 00000000D530: 7E604130
	v_exp_f32_e32 v49, v49                                     // 00000000D534: 7E624131
	v_mul_f32_e32 v4, v16, v4                                  // 00000000D538: 0A080910
	v_mov_b32_e32 v28, v42                                     // 00000000D53C: 7E38032A
	v_add_f32_e32 v28, v43, v28                                // 00000000D540: 0238392B
	v_add_f32_e32 v28, v44, v28                                // 00000000D544: 0238392C
	v_add_f32_e32 v28, v45, v28                                // 00000000D548: 0238392D
	v_add_f32_e32 v28, v46, v28                                // 00000000D54C: 0238392E
	v_add_f32_e32 v28, v47, v28                                // 00000000D550: 0238392F
	v_add_f32_e32 v28, v48, v28                                // 00000000D554: 02383930
	v_add_f32_e32 v28, v49, v28                                // 00000000D558: 02383931
	v_add_f32_e32 v4, v28, v4                                  // 00000000D55C: 0208091C
	v_cvt_pk_bf16_f32 v42, v42, v43                            // 00000000D560: D268002A 0002572A
	v_cvt_pk_bf16_f32 v43, v44, v45                            // 00000000D568: D268002B 00025B2C
	v_cvt_pk_bf16_f32 v44, v46, v47                            // 00000000D570: D268002C 00025F2E
	v_cvt_pk_bf16_f32 v45, v48, v49                            // 00000000D578: D268002D 00026330
	s_nop 0                                                    // 00000000D580: BF800000
	v_permlane32_swap_b32_e32 v42, v44                         // 00000000D584: 7E54B52C
	v_permlane32_swap_b32_e32 v43, v45                         // 00000000D588: 7E56B52D
	s_nop 0                                                    // 00000000D58C: BF800000
	v_permlane16_swap_b32_e32 v42, v44                         // 00000000D590: 7E54B32C
	v_permlane16_swap_b32_e32 v43, v45                         // 00000000D594: 7E56B32D
	v_mov_b32_e32 v30, v16                                     // 00000000D598: 7E3C0310
	v_mov_b32_e32 v31, v16                                     // 00000000D59C: 7E3E0310
	v_pk_mul_f32 v[50:51], v[30:31], v[50:51]                  // 00000000D5A0: D3B14032 1802651E
	v_pk_mul_f32 v[52:53], v[30:31], v[52:53]                  // 00000000D5A8: D3B14034 1802691E
	v_pk_mul_f32 v[54:55], v[30:31], v[54:55]                  // 00000000D5B0: D3B14036 18026D1E
	v_pk_mul_f32 v[56:57], v[30:31], v[56:57]                  // 00000000D5B8: D3B14038 1802711E
	v_pk_mul_f32 v[58:59], v[30:31], v[58:59]                  // 00000000D5C0: D3B1403A 1802751E
	v_pk_mul_f32 v[60:61], v[30:31], v[60:61]                  // 00000000D5C8: D3B1403C 1802791E
	v_pk_mul_f32 v[62:63], v[30:31], v[62:63]                  // 00000000D5D0: D3B1403E 18027D1E
	v_pk_mul_f32 v[64:65], v[30:31], v[64:65]                  // 00000000D5D8: D3B14040 1802811E
	v_pk_mul_f32 v[66:67], v[30:31], v[66:67]                  // 00000000D5E0: D3B14042 1802851E
	v_pk_mul_f32 v[68:69], v[30:31], v[68:69]                  // 00000000D5E8: D3B14044 1802891E
	v_pk_mul_f32 v[70:71], v[30:31], v[70:71]                  // 00000000D5F0: D3B14046 18028D1E
	v_pk_mul_f32 v[72:73], v[30:31], v[72:73]                  // 00000000D5F8: D3B14048 1802911E
	v_pk_mul_f32 v[74:75], v[30:31], v[74:75]                  // 00000000D600: D3B1404A 1802951E
	v_pk_mul_f32 v[76:77], v[30:31], v[76:77]                  // 00000000D608: D3B1404C 1802991E
	v_pk_mul_f32 v[78:79], v[30:31], v[78:79]                  // 00000000D610: D3B1404E 18029D1E
	v_pk_mul_f32 v[80:81], v[30:31], v[80:81]                  // 00000000D618: D3B14050 1802A11E
	v_pk_mul_f32 v[82:83], v[30:31], v[82:83]                  // 00000000D620: D3B14052 1802A51E
	v_pk_mul_f32 v[84:85], v[30:31], v[84:85]                  // 00000000D628: D3B14054 1802A91E
	v_pk_mul_f32 v[86:87], v[30:31], v[86:87]                  // 00000000D630: D3B14056 1802AD1E
	v_pk_mul_f32 v[88:89], v[30:31], v[88:89]                  // 00000000D638: D3B14058 1802B11E
	v_pk_mul_f32 v[90:91], v[30:31], v[90:91]                  // 00000000D640: D3B1405A 1802B51E
	v_pk_mul_f32 v[92:93], v[30:31], v[92:93]                  // 00000000D648: D3B1405C 1802B91E
	v_pk_mul_f32 v[94:95], v[30:31], v[94:95]                  // 00000000D650: D3B1405E 1802BD1E
	v_pk_mul_f32 v[96:97], v[30:31], v[96:97]                  // 00000000D658: D3B14060 1802C11E
	v_pk_mul_f32 v[98:99], v[30:31], v[98:99]                  // 00000000D660: D3B14062 1802C51E
	v_pk_mul_f32 v[100:101], v[30:31], v[100:101]              // 00000000D668: D3B14064 1802C91E
	v_pk_mul_f32 v[102:103], v[30:31], v[102:103]              // 00000000D670: D3B14066 1802CD1E
	v_pk_mul_f32 v[104:105], v[30:31], v[104:105]              // 00000000D678: D3B14068 1802D11E
	v_pk_mul_f32 v[106:107], v[30:31], v[106:107]              // 00000000D680: D3B1406A 1802D51E
	v_pk_mul_f32 v[108:109], v[30:31], v[108:109]              // 00000000D688: D3B1406C 1802D91E
	v_pk_mul_f32 v[110:111], v[30:31], v[110:111]              // 00000000D690: D3B1406E 1802DD1E
	v_pk_mul_f32 v[112:113], v[30:31], v[112:113]              // 00000000D698: D3B14070 1802E11E
	v_pk_mul_f32 v[114:115], v[30:31], v[114:115]              // 00000000D6A0: D3B14072 1802E51E
	v_pk_mul_f32 v[116:117], v[30:31], v[116:117]              // 00000000D6A8: D3B14074 1802E91E
	v_pk_mul_f32 v[118:119], v[30:31], v[118:119]              // 00000000D6B0: D3B14076 1802ED1E
	v_pk_mul_f32 v[120:121], v[30:31], v[120:121]              // 00000000D6B8: D3B14078 1802F11E
	v_pk_mul_f32 v[122:123], v[30:31], v[122:123]              // 00000000D6C0: D3B1407A 1802F51E
	v_pk_mul_f32 v[124:125], v[30:31], v[124:125]              // 00000000D6C8: D3B1407C 1802F91E
	v_pk_mul_f32 v[126:127], v[30:31], v[126:127]              // 00000000D6D0: D3B1407E 1802FD1E
	v_pk_mul_f32 v[128:129], v[30:31], v[128:129]              // 00000000D6D8: D3B14080 1803011E
	v_pk_mul_f32 v[130:131], v[30:31], v[130:131]              // 00000000D6E0: D3B14082 1803051E
	v_pk_mul_f32 v[132:133], v[30:31], v[132:133]              // 00000000D6E8: D3B14084 1803091E
	v_pk_mul_f32 v[134:135], v[30:31], v[134:135]              // 00000000D6F0: D3B14086 18030D1E
	v_pk_mul_f32 v[136:137], v[30:31], v[136:137]              // 00000000D6F8: D3B14088 1803111E
	v_pk_mul_f32 v[138:139], v[30:31], v[138:139]              // 00000000D700: D3B1408A 1803151E
	v_pk_mul_f32 v[140:141], v[30:31], v[140:141]              // 00000000D708: D3B1408C 1803191E
	v_pk_mul_f32 v[142:143], v[30:31], v[142:143]              // 00000000D710: D3B1408E 18031D1E
	v_pk_mul_f32 v[144:145], v[30:31], v[144:145]              // 00000000D718: D3B14090 1803211E
	v_pk_mul_f32 v[146:147], v[30:31], v[146:147]              // 00000000D720: D3B14092 1803251E
	v_pk_mul_f32 v[148:149], v[30:31], v[148:149]              // 00000000D728: D3B14094 1803291E
	v_pk_mul_f32 v[150:151], v[30:31], v[150:151]              // 00000000D730: D3B14096 18032D1E
	v_pk_mul_f32 v[152:153], v[30:31], v[152:153]              // 00000000D738: D3B14098 1803311E
	v_pk_mul_f32 v[154:155], v[30:31], v[154:155]              // 00000000D740: D3B1409A 1803351E
	v_pk_mul_f32 v[156:157], v[30:31], v[156:157]              // 00000000D748: D3B1409C 1803391E
	v_pk_mul_f32 v[158:159], v[30:31], v[158:159]              // 00000000D750: D3B1409E 18033D1E
	v_pk_mul_f32 v[160:161], v[30:31], v[160:161]              // 00000000D758: D3B140A0 1803411E
	v_pk_mul_f32 v[162:163], v[30:31], v[162:163]              // 00000000D760: D3B140A2 1803451E
	v_pk_mul_f32 v[164:165], v[30:31], v[164:165]              // 00000000D768: D3B140A4 1803491E
	v_pk_mul_f32 v[166:167], v[30:31], v[166:167]              // 00000000D770: D3B140A6 18034D1E
	v_pk_mul_f32 v[168:169], v[30:31], v[168:169]              // 00000000D778: D3B140A8 1803511E
	v_pk_mul_f32 v[170:171], v[30:31], v[170:171]              // 00000000D780: D3B140AA 1803551E
	v_pk_mul_f32 v[172:173], v[30:31], v[172:173]              // 00000000D788: D3B140AC 1803591E
	v_pk_mul_f32 v[174:175], v[30:31], v[174:175]              // 00000000D790: D3B140AE 18035D1E
	v_pk_mul_f32 v[176:177], v[30:31], v[176:177]              // 00000000D798: D3B140B0 1803611E
	s_waitcnt lgkmcnt(0)                                       // 00000000D7A0: BF8CC07F
	v_mfma_f32_16x16x32_bf16 v[50:53], a[144:147], v[42:45], v[50:53]// 00000000D7A4: D3B50032 0CCA5590
	v_mfma_f32_16x16x32_bf16 v[54:57], a[148:151], v[42:45], v[54:57]// 00000000D7AC: D3B50036 0CDA5594
	v_mfma_f32_16x16x32_bf16 v[58:61], a[152:155], v[42:45], v[58:61]// 00000000D7B4: D3B5003A 0CEA5598
	v_mfma_f32_16x16x32_bf16 v[62:65], a[156:159], v[42:45], v[62:65]// 00000000D7BC: D3B5003E 0CFA559C
	v_mfma_f32_16x16x32_bf16 v[66:69], a[160:163], v[42:45], v[66:69]// 00000000D7C4: D3B50042 0D0A55A0
	v_mfma_f32_16x16x32_bf16 v[70:73], a[164:167], v[42:45], v[70:73]// 00000000D7CC: D3B50046 0D1A55A4
	v_mfma_f32_16x16x32_bf16 v[74:77], a[168:171], v[42:45], v[74:77]// 00000000D7D4: D3B5004A 0D2A55A8
	v_mfma_f32_16x16x32_bf16 v[78:81], a[172:175], v[42:45], v[78:81]// 00000000D7DC: D3B5004E 0D3A55AC
	v_mfma_f32_16x16x32_bf16 v[82:85], a[176:179], v[42:45], v[82:85]// 00000000D7E4: D3B50052 0D4A55B0
	v_mfma_f32_16x16x32_bf16 v[86:89], a[180:183], v[42:45], v[86:89]// 00000000D7EC: D3B50056 0D5A55B4
	v_mfma_f32_16x16x32_bf16 v[90:93], a[184:187], v[42:45], v[90:93]// 00000000D7F4: D3B5005A 0D6A55B8
	ds_read_b64_tr_b16 a[144:145], v14 offset:8192             // 00000000D7FC: DBC62000 9000000E
	ds_read_b64_tr_b16 a[146:147], v14 offset:8448             // 00000000D804: DBC62100 9200000E
	ds_read_b64_tr_b16 a[148:149], v15 offset:8192             // 00000000D80C: DBC62000 9400000F
	ds_read_b64_tr_b16 a[150:151], v15 offset:8448             // 00000000D814: DBC62100 9600000F
	v_mfma_f32_16x16x32_bf16 v[94:97], a[188:191], v[42:45], v[94:97]// 00000000D81C: D3B5005E 0D7A55BC
	ds_read_b64_tr_b16 a[152:153], v14 offset:9216             // 00000000D824: DBC62400 9800000E
	ds_read_b64_tr_b16 a[154:155], v14 offset:9472             // 00000000D82C: DBC62500 9A00000E
	ds_read_b64_tr_b16 a[156:157], v15 offset:9216             // 00000000D834: DBC62400 9C00000F
	ds_read_b64_tr_b16 a[158:159], v15 offset:9472             // 00000000D83C: DBC62500 9E00000F
	v_mfma_f32_16x16x32_bf16 v[98:101], a[192:195], v[42:45], v[98:101]// 00000000D844: D3B50062 0D8A55C0
	ds_read_b64_tr_b16 a[160:161], v14 offset:10240            // 00000000D84C: DBC62800 A000000E
	ds_read_b64_tr_b16 a[162:163], v14 offset:10496            // 00000000D854: DBC62900 A200000E
	ds_read_b64_tr_b16 a[164:165], v15 offset:10240            // 00000000D85C: DBC62800 A400000F
	ds_read_b64_tr_b16 a[166:167], v15 offset:10496            // 00000000D864: DBC62900 A600000F
	v_mfma_f32_16x16x32_bf16 v[102:105], a[196:199], v[42:45], v[102:105]// 00000000D86C: D3B50066 0D9A55C4
	ds_read_b64_tr_b16 a[168:169], v14 offset:11264            // 00000000D874: DBC62C00 A800000E
	ds_read_b64_tr_b16 a[170:171], v14 offset:11520            // 00000000D87C: DBC62D00 AA00000E
	ds_read_b64_tr_b16 a[172:173], v15 offset:11264            // 00000000D884: DBC62C00 AC00000F
	ds_read_b64_tr_b16 a[174:175], v15 offset:11520            // 00000000D88C: DBC62D00 AE00000F
	v_mfma_f32_16x16x32_bf16 v[106:109], a[200:203], v[42:45], v[106:109]// 00000000D894: D3B5006A 0DAA55C8
	ds_read_b64_tr_b16 a[176:177], v14 offset:12288            // 00000000D89C: DBC63000 B000000E
	ds_read_b64_tr_b16 a[178:179], v14 offset:12544            // 00000000D8A4: DBC63100 B200000E
	ds_read_b64_tr_b16 a[180:181], v15 offset:12288            // 00000000D8AC: DBC63000 B400000F
	ds_read_b64_tr_b16 a[182:183], v15 offset:12544            // 00000000D8B4: DBC63100 B600000F
	v_mfma_f32_16x16x32_bf16 v[110:113], a[204:207], v[42:45], v[110:113]// 00000000D8BC: D3B5006E 0DBA55CC
	ds_read_b64_tr_b16 a[184:185], v14 offset:13312            // 00000000D8C4: DBC63400 B800000E
	ds_read_b64_tr_b16 a[186:187], v14 offset:13568            // 00000000D8CC: DBC63500 BA00000E
	ds_read_b64_tr_b16 a[188:189], v15 offset:13312            // 00000000D8D4: DBC63400 BC00000F
	ds_read_b64_tr_b16 a[190:191], v15 offset:13568            // 00000000D8DC: DBC63500 BE00000F
	ds_read_b64_tr_b16 a[192:193], v14 offset:14336            // 00000000D8E4: DBC63800 C000000E
	ds_read_b64_tr_b16 a[194:195], v14 offset:14592            // 00000000D8EC: DBC63900 C200000E
	ds_read_b64_tr_b16 a[196:197], v15 offset:14336            // 00000000D8F4: DBC63800 C400000F
	ds_read_b64_tr_b16 a[198:199], v15 offset:14592            // 00000000D8FC: DBC63900 C600000F
	ds_read_b64_tr_b16 a[200:201], v14 offset:15360            // 00000000D904: DBC63C00 C800000E
	ds_read_b64_tr_b16 a[202:203], v14 offset:15616            // 00000000D90C: DBC63D00 CA00000E
	ds_read_b64_tr_b16 a[204:205], v15 offset:15360            // 00000000D914: DBC63C00 CC00000F
	ds_read_b64_tr_b16 a[206:207], v15 offset:15616            // 00000000D91C: DBC63D00 CE00000F
	s_waitcnt lgkmcnt(0)                                       // 00000000D924: BF8CC07F
	v_mfma_f32_16x16x32_bf16 v[114:117], a[144:147], v[42:45], v[114:117]// 00000000D928: D3B50072 0DCA5590
	v_mfma_f32_16x16x32_bf16 v[118:121], a[148:151], v[42:45], v[118:121]// 00000000D930: D3B50076 0DDA5594
	v_mfma_f32_16x16x32_bf16 v[122:125], a[152:155], v[42:45], v[122:125]// 00000000D938: D3B5007A 0DEA5598
	v_mfma_f32_16x16x32_bf16 v[126:129], a[156:159], v[42:45], v[126:129]// 00000000D940: D3B5007E 0DFA559C
	v_mfma_f32_16x16x32_bf16 v[130:133], a[160:163], v[42:45], v[130:133]// 00000000D948: D3B50082 0E0A55A0
	v_mfma_f32_16x16x32_bf16 v[134:137], a[164:167], v[42:45], v[134:137]// 00000000D950: D3B50086 0E1A55A4
	v_mfma_f32_16x16x32_bf16 v[138:141], a[168:171], v[42:45], v[138:141]// 00000000D958: D3B5008A 0E2A55A8
	v_mfma_f32_16x16x32_bf16 v[142:145], a[172:175], v[42:45], v[142:145]// 00000000D960: D3B5008E 0E3A55AC
	v_mfma_f32_16x16x32_bf16 v[146:149], a[176:179], v[42:45], v[146:149]// 00000000D968: D3B50092 0E4A55B0
	v_mfma_f32_16x16x32_bf16 v[150:153], a[180:183], v[42:45], v[150:153]// 00000000D970: D3B50096 0E5A55B4
	v_mfma_f32_16x16x32_bf16 v[154:157], a[184:187], v[42:45], v[154:157]// 00000000D978: D3B5009A 0E6A55B8
	v_mfma_f32_16x16x32_bf16 v[158:161], a[188:191], v[42:45], v[158:161]// 00000000D980: D3B5009E 0E7A55BC
	v_mfma_f32_16x16x32_bf16 v[162:165], a[192:195], v[42:45], v[162:165]// 00000000D988: D3B500A2 0E8A55C0
	v_mfma_f32_16x16x32_bf16 v[166:169], a[196:199], v[42:45], v[166:169]// 00000000D990: D3B500A6 0E9A55C4
	v_mfma_f32_16x16x32_bf16 v[170:173], a[200:203], v[42:45], v[170:173]// 00000000D998: D3B500AA 0EAA55C8
	v_mfma_f32_16x16x32_bf16 v[174:177], a[204:207], v[42:45], v[174:177]// 00000000D9A0: D3B500AE 0EBA55CC
	s_nop 8                                                    // 00000000D9A8: BF800008
	s_branch label_B6B8                                        // 00000000D9AC: BF820000

000000000000d9b0 <label_B6B8>:
	v_mov_b32_e32 v28, v4                                      // 00000000D9B0: 7E380304
	v_mov_b32_e32 v29, v4                                      // 00000000D9B4: 7E3A0304
	s_nop 1                                                    // 00000000D9B8: BF800001
	v_permlane16_swap_b32_e32 v28, v29                         // 00000000D9BC: 7E38B31D
	v_mov_b32_e32 v31, v28                                     // 00000000D9C0: 7E3E031C
	v_mov_b32_e32 v30, v29                                     // 00000000D9C4: 7E3C031D
	s_nop 1                                                    // 00000000D9C8: BF800001
	v_permlane32_swap_b32_e32 v28, v29                         // 00000000D9CC: 7E38B51D
	v_permlane32_swap_b32_e32 v30, v31                         // 00000000D9D0: 7E3CB51F
	v_mov_b32_e32 v4, 0                                        // 00000000D9D4: 7E080280
	v_add_f32_e32 v4, v28, v4                                  // 00000000D9D8: 0208091C
	v_add_f32_e32 v4, v29, v4                                  // 00000000D9DC: 0208091D
	v_add_f32_e32 v4, v30, v4                                  // 00000000D9E0: 0208091E
	v_add_f32_e32 v4, v31, v4                                  // 00000000D9E4: 0208091F
	v_mov_b32_e32 v28, 0                                       // 00000000D9E8: 7E380280
	v_cmp_eq_u32_e64 s[36:37], v28, v4                         // 00000000D9EC: D0CA0024 0002091C
	v_mul_f32_e64 v28, v2, s64                                 // 00000000D9F4: D105001C 00008102
	v_log_f32_e32 v29, v4                                      // 00000000D9FC: 7E3A4304
	s_nop 1                                                    // 00000000DA00: BF800001
	v_rcp_f32_e32 v4, v4                                       // 00000000DA04: 7E084504
	s_nop 1                                                    // 00000000DA08: BF800001
	v_fma_f32 v1, v29, s63, v28                                // 00000000DA0C: D1CB0001 04707F1D
	v_mul_f32_e32 v50, v4, v50                                 // 00000000DA14: 0A646504
	v_mul_f32_e32 v51, v4, v51                                 // 00000000DA18: 0A666704
	v_mul_f32_e32 v52, v4, v52                                 // 00000000DA1C: 0A686904
	v_mul_f32_e32 v53, v4, v53                                 // 00000000DA20: 0A6A6B04
	v_mul_f32_e32 v54, v4, v54                                 // 00000000DA24: 0A6C6D04
	v_mul_f32_e32 v55, v4, v55                                 // 00000000DA28: 0A6E6F04
	v_mul_f32_e32 v56, v4, v56                                 // 00000000DA2C: 0A707104
	v_mul_f32_e32 v57, v4, v57                                 // 00000000DA30: 0A727304
	v_mul_f32_e32 v58, v4, v58                                 // 00000000DA34: 0A747504
	v_mul_f32_e32 v59, v4, v59                                 // 00000000DA38: 0A767704
	v_mul_f32_e32 v60, v4, v60                                 // 00000000DA3C: 0A787904
	v_mul_f32_e32 v61, v4, v61                                 // 00000000DA40: 0A7A7B04
	v_mul_f32_e32 v62, v4, v62                                 // 00000000DA44: 0A7C7D04
	v_mul_f32_e32 v63, v4, v63                                 // 00000000DA48: 0A7E7F04
	v_mul_f32_e32 v64, v4, v64                                 // 00000000DA4C: 0A808104
	v_mul_f32_e32 v65, v4, v65                                 // 00000000DA50: 0A828304
	v_mul_f32_e32 v66, v4, v66                                 // 00000000DA54: 0A848504
	v_mul_f32_e32 v67, v4, v67                                 // 00000000DA58: 0A868704
	v_mul_f32_e32 v68, v4, v68                                 // 00000000DA5C: 0A888904
	v_mul_f32_e32 v69, v4, v69                                 // 00000000DA60: 0A8A8B04
	v_mul_f32_e32 v70, v4, v70                                 // 00000000DA64: 0A8C8D04
	v_mul_f32_e32 v71, v4, v71                                 // 00000000DA68: 0A8E8F04
	v_mul_f32_e32 v72, v4, v72                                 // 00000000DA6C: 0A909104
	v_mul_f32_e32 v73, v4, v73                                 // 00000000DA70: 0A929304
	v_mul_f32_e32 v74, v4, v74                                 // 00000000DA74: 0A949504
	v_mul_f32_e32 v75, v4, v75                                 // 00000000DA78: 0A969704
	v_mul_f32_e32 v76, v4, v76                                 // 00000000DA7C: 0A989904
	v_mul_f32_e32 v77, v4, v77                                 // 00000000DA80: 0A9A9B04
	v_mul_f32_e32 v78, v4, v78                                 // 00000000DA84: 0A9C9D04
	v_mul_f32_e32 v79, v4, v79                                 // 00000000DA88: 0A9E9F04
	v_mul_f32_e32 v80, v4, v80                                 // 00000000DA8C: 0AA0A104
	v_mul_f32_e32 v81, v4, v81                                 // 00000000DA90: 0AA2A304
	v_mul_f32_e32 v82, v4, v82                                 // 00000000DA94: 0AA4A504
	v_mul_f32_e32 v83, v4, v83                                 // 00000000DA98: 0AA6A704
	v_mul_f32_e32 v84, v4, v84                                 // 00000000DA9C: 0AA8A904
	v_mul_f32_e32 v85, v4, v85                                 // 00000000DAA0: 0AAAAB04
	v_mul_f32_e32 v86, v4, v86                                 // 00000000DAA4: 0AACAD04
	v_mul_f32_e32 v87, v4, v87                                 // 00000000DAA8: 0AAEAF04
	v_mul_f32_e32 v88, v4, v88                                 // 00000000DAAC: 0AB0B104
	v_mul_f32_e32 v89, v4, v89                                 // 00000000DAB0: 0AB2B304
	v_mul_f32_e32 v90, v4, v90                                 // 00000000DAB4: 0AB4B504
	v_mul_f32_e32 v91, v4, v91                                 // 00000000DAB8: 0AB6B704
	v_mul_f32_e32 v92, v4, v92                                 // 00000000DABC: 0AB8B904
	v_mul_f32_e32 v93, v4, v93                                 // 00000000DAC0: 0ABABB04
	v_mul_f32_e32 v94, v4, v94                                 // 00000000DAC4: 0ABCBD04
	v_mul_f32_e32 v95, v4, v95                                 // 00000000DAC8: 0ABEBF04
	v_mul_f32_e32 v96, v4, v96                                 // 00000000DACC: 0AC0C104
	v_mul_f32_e32 v97, v4, v97                                 // 00000000DAD0: 0AC2C304
	v_mul_f32_e32 v98, v4, v98                                 // 00000000DAD4: 0AC4C504
	v_mul_f32_e32 v99, v4, v99                                 // 00000000DAD8: 0AC6C704
	v_mul_f32_e32 v100, v4, v100                               // 00000000DADC: 0AC8C904
	v_mul_f32_e32 v101, v4, v101                               // 00000000DAE0: 0ACACB04
	v_mul_f32_e32 v102, v4, v102                               // 00000000DAE4: 0ACCCD04
	v_mul_f32_e32 v103, v4, v103                               // 00000000DAE8: 0ACECF04
	v_mul_f32_e32 v104, v4, v104                               // 00000000DAEC: 0AD0D104
	v_mul_f32_e32 v105, v4, v105                               // 00000000DAF0: 0AD2D304
	v_mul_f32_e32 v106, v4, v106                               // 00000000DAF4: 0AD4D504
	v_mul_f32_e32 v107, v4, v107                               // 00000000DAF8: 0AD6D704
	v_mul_f32_e32 v108, v4, v108                               // 00000000DAFC: 0AD8D904
	v_mul_f32_e32 v109, v4, v109                               // 00000000DB00: 0ADADB04
	v_mul_f32_e32 v110, v4, v110                               // 00000000DB04: 0ADCDD04
	v_mul_f32_e32 v111, v4, v111                               // 00000000DB08: 0ADEDF04
	v_mul_f32_e32 v112, v4, v112                               // 00000000DB0C: 0AE0E104
	v_mul_f32_e32 v113, v4, v113                               // 00000000DB10: 0AE2E304
	v_mul_f32_e32 v114, v4, v114                               // 00000000DB14: 0AE4E504
	v_mul_f32_e32 v115, v4, v115                               // 00000000DB18: 0AE6E704
	v_mul_f32_e32 v116, v4, v116                               // 00000000DB1C: 0AE8E904
	v_mul_f32_e32 v117, v4, v117                               // 00000000DB20: 0AEAEB04
	v_mul_f32_e32 v118, v4, v118                               // 00000000DB24: 0AECED04
	v_mul_f32_e32 v119, v4, v119                               // 00000000DB28: 0AEEEF04
	v_mul_f32_e32 v120, v4, v120                               // 00000000DB2C: 0AF0F104
	v_mul_f32_e32 v121, v4, v121                               // 00000000DB30: 0AF2F304
	v_mul_f32_e32 v122, v4, v122                               // 00000000DB34: 0AF4F504
	v_mul_f32_e32 v123, v4, v123                               // 00000000DB38: 0AF6F704
	v_mul_f32_e32 v124, v4, v124                               // 00000000DB3C: 0AF8F904
	v_mul_f32_e32 v125, v4, v125                               // 00000000DB40: 0AFAFB04
	v_mul_f32_e32 v126, v4, v126                               // 00000000DB44: 0AFCFD04
	v_mul_f32_e32 v127, v4, v127                               // 00000000DB48: 0AFEFF04
	v_mul_f32_e32 v128, v4, v128                               // 00000000DB4C: 0B010104
	v_mul_f32_e32 v129, v4, v129                               // 00000000DB50: 0B030304
	v_mul_f32_e32 v130, v4, v130                               // 00000000DB54: 0B050504
	v_mul_f32_e32 v131, v4, v131                               // 00000000DB58: 0B070704
	v_mul_f32_e32 v132, v4, v132                               // 00000000DB5C: 0B090904
	v_mul_f32_e32 v133, v4, v133                               // 00000000DB60: 0B0B0B04
	v_mul_f32_e32 v134, v4, v134                               // 00000000DB64: 0B0D0D04
	v_mul_f32_e32 v135, v4, v135                               // 00000000DB68: 0B0F0F04
	v_mul_f32_e32 v136, v4, v136                               // 00000000DB6C: 0B111104
	v_mul_f32_e32 v137, v4, v137                               // 00000000DB70: 0B131304
	v_mul_f32_e32 v138, v4, v138                               // 00000000DB74: 0B151504
	v_mul_f32_e32 v139, v4, v139                               // 00000000DB78: 0B171704
	v_mul_f32_e32 v140, v4, v140                               // 00000000DB7C: 0B191904
	v_mul_f32_e32 v141, v4, v141                               // 00000000DB80: 0B1B1B04
	v_mul_f32_e32 v142, v4, v142                               // 00000000DB84: 0B1D1D04
	v_mul_f32_e32 v143, v4, v143                               // 00000000DB88: 0B1F1F04
	v_mul_f32_e32 v144, v4, v144                               // 00000000DB8C: 0B212104
	v_mul_f32_e32 v145, v4, v145                               // 00000000DB90: 0B232304
	v_mul_f32_e32 v146, v4, v146                               // 00000000DB94: 0B252504
	v_mul_f32_e32 v147, v4, v147                               // 00000000DB98: 0B272704
	v_mul_f32_e32 v148, v4, v148                               // 00000000DB9C: 0B292904
	v_mul_f32_e32 v149, v4, v149                               // 00000000DBA0: 0B2B2B04
	v_mul_f32_e32 v150, v4, v150                               // 00000000DBA4: 0B2D2D04
	v_mul_f32_e32 v151, v4, v151                               // 00000000DBA8: 0B2F2F04
	v_mul_f32_e32 v152, v4, v152                               // 00000000DBAC: 0B313104
	v_mul_f32_e32 v153, v4, v153                               // 00000000DBB0: 0B333304
	v_mul_f32_e32 v154, v4, v154                               // 00000000DBB4: 0B353504
	v_mul_f32_e32 v155, v4, v155                               // 00000000DBB8: 0B373704
	v_mul_f32_e32 v156, v4, v156                               // 00000000DBBC: 0B393904
	v_mul_f32_e32 v157, v4, v157                               // 00000000DBC0: 0B3B3B04
	v_mul_f32_e32 v158, v4, v158                               // 00000000DBC4: 0B3D3D04
	v_mul_f32_e32 v159, v4, v159                               // 00000000DBC8: 0B3F3F04
	v_mul_f32_e32 v160, v4, v160                               // 00000000DBCC: 0B414104
	v_mul_f32_e32 v161, v4, v161                               // 00000000DBD0: 0B434304
	v_mul_f32_e32 v162, v4, v162                               // 00000000DBD4: 0B454504
	v_mul_f32_e32 v163, v4, v163                               // 00000000DBD8: 0B474704
	v_mul_f32_e32 v164, v4, v164                               // 00000000DBDC: 0B494904
	v_mul_f32_e32 v165, v4, v165                               // 00000000DBE0: 0B4B4B04
	v_mul_f32_e32 v166, v4, v166                               // 00000000DBE4: 0B4D4D04
	v_mul_f32_e32 v167, v4, v167                               // 00000000DBE8: 0B4F4F04
	v_mul_f32_e32 v168, v4, v168                               // 00000000DBEC: 0B515104
	v_mul_f32_e32 v169, v4, v169                               // 00000000DBF0: 0B535304
	v_mul_f32_e32 v170, v4, v170                               // 00000000DBF4: 0B555504
	v_mul_f32_e32 v171, v4, v171                               // 00000000DBF8: 0B575704
	v_mul_f32_e32 v172, v4, v172                               // 00000000DBFC: 0B595904
	v_mul_f32_e32 v173, v4, v173                               // 00000000DC00: 0B5B5B04
	v_mul_f32_e32 v174, v4, v174                               // 00000000DC04: 0B5D5D04
	v_mul_f32_e32 v175, v4, v175                               // 00000000DC08: 0B5F5F04
	v_mul_f32_e32 v176, v4, v176                               // 00000000DC0C: 0B616104
	v_mul_f32_e32 v177, v4, v177                               // 00000000DC10: 0B636304
	s_cmp_eq_u32 s67, 1                                        // 00000000DC14: BF068143
	s_cbranch_scc1 label_C130                                  // 00000000DC18: BF850203
	s_mul_i32 s56, 0x800, 16                                   // 00000000DC1C: 923890FF 00000800
	s_mul_i32 s57, 0x400, 16                                   // 00000000DC24: 923990FF 00000400
	s_cmp_eq_u32 s67, 1                                        // 00000000DC2C: BF068143
	s_cselect_b32 s75, s57, s56                                // 00000000DC30: 854B3839
	s_mul_i32 s94, s67, s75                                    // 00000000DC34: 925E4B43
	s_mul_i32 s93, s92, s75                                    // 00000000DC38: 925D4B5C
	s_lshr_b32 s56, s65, 4                                     // 00000000DC3C: 8F388441
	s_mul_i32 s56, s93, s56                                    // 00000000DC40: 9238385D
	s_lshr_b32 s57, s80, 4                                     // 00000000DC44: 8F398450
	s_cmp_lt_u32 s7, s57                                       // 00000000DC48: BF0A3907
	s_cselect_b32 s10, s56, 0                                  // 00000000DC4C: 850A8038
	s_mul_i32 s56, s3, s56                                     // 00000000DC50: 92383803
	s_add_u32 s8, s56, s8                                      // 00000000DC54: 80080838
	s_addc_u32 s9, 0, s9                                       // 00000000DC58: 82090980
	v_lshrrev_b32_e32 v28, 5, v0                               // 00000000DC5C: 20380085
	s_mov_b32 s57, 0x800                                       // 00000000DC60: BEB900FF 00000800
	v_mul_i32_i24_e32 v28, s57, v28                            // 00000000DC68: 0C383839
	v_and_b32_e32 v5, 31, v0                                   // 00000000DC6C: 260A009F
	v_lshlrev_b32_e32 v5, 4, v5                                // 00000000DC70: 240A0A84
	v_add_u32_e32 v5, v5, v28                                  // 00000000DC74: 680A3905
	s_lshr_b32 s56, s7, 1                                      // 00000000DC78: 8F388107
	s_lshl_b32 s57, s93, 1                                     // 00000000DC7C: 8E39815D
	s_mul_i32 s56, s56, s57                                    // 00000000DC80: 92383938
	s_and_b32 s57, s7, 1                                       // 00000000DC84: 86398107
	s_mul_i32 s57, s57, s75                                    // 00000000DC88: 92394B39
	s_add_u32 s56, s56, s57                                    // 00000000DC8C: 80383938
	v_add_u32_e64 v5, v5, s56                                  // 00000000DC90: D1340005 00007105
	s_lshl_b32 s56, s75, 1                                     // 00000000DC98: 8E38814B
	s_mul_i32 s56, s4, s56                                     // 00000000DC9C: 92383804
	v_add_u32_e64 v5, v5, s56                                  // 00000000DCA0: D1340005 00007105
	s_lshl_b32 s56, s93, 2                                     // 00000000DCA8: 8E38825D
	s_mul_i32 s56, s2, s56                                     // 00000000DCAC: 92383802
	v_add_u32_e64 v5, v5, s56                                  // 00000000DCB0: D1340005 00007105
	s_mul_i32 s57, 4, 16                                       // 00000000DCB8: 92399084
	s_lshr_b32 s56, s65, 4                                     // 00000000DCBC: 8F388441
	s_mul_i32 s56, s57, s56                                    // 00000000DCC0: 92383839
	s_mul_i32 s56, s3, s56                                     // 00000000DCC4: 92383803
	s_add_u32 s96, s56, s96                                    // 00000000DCC8: 80606038
	s_addc_u32 s97, 0, s97                                     // 00000000DCCC: 82616180
	v_and_b32_e32 v4, 15, v0                                   // 00000000DCD0: 2608008F
	v_lshlrev_b32_e32 v4, 2, v4                                // 00000000DCD4: 24080882
	s_lshr_b32 s56, s7, 1                                      // 00000000DCD8: 8F388107
	s_lshl_b32 s58, s57, 1                                     // 00000000DCDC: 8E3A8139
	s_mul_i32 s56, s56, s58                                    // 00000000DCE0: 92383A38
	s_and_b32 s58, s7, 1                                       // 00000000DCE4: 863A8107
	s_mul_i32 s58, s58, s57                                    // 00000000DCE8: 923A393A
	s_add_u32 s56, s56, s58                                    // 00000000DCEC: 80383A38
	v_add_u32_e64 v4, v4, s56                                  // 00000000DCF0: D1340004 00007104
	s_lshl_b32 s56, s57, 2                                     // 00000000DCF8: 8E388239
	s_mul_i32 s56, s2, s56                                     // 00000000DCFC: 92383802
	v_add_u32_e64 v4, v4, s56                                  // 00000000DD00: D1340004 00007104
	s_mul_i32 s58, 4, 16                                       // 00000000DD08: 923A9084
	s_mul_i32 s77, s67, s58                                    // 00000000DD0C: 924D3A43
	s_mul_i32 s57, s92, s58                                    // 00000000DD10: 92393A5C
	s_lshr_b32 s56, s65, 4                                     // 00000000DD14: 8F388441
	s_mul_i32 s56, s57, s56                                    // 00000000DD18: 92383839
	s_lshr_b32 s59, s80, 4                                     // 00000000DD1C: 8F3B8450
	s_cmp_lt_u32 s7, s59                                       // 00000000DD20: BF0A3B07
	s_cselect_b32 s14, s56, 0                                  // 00000000DD24: 850E8038
	s_mul_i32 s56, s3, s56                                     // 00000000DD28: 92383803
	s_add_u32 s12, s56, s12                                    // 00000000DD2C: 800C0C38
	s_addc_u32 s13, 0, s13                                     // 00000000DD30: 820D0D80
	v_and_b32_e32 v4, 15, v0                                   // 00000000DD34: 2608008F
	v_lshlrev_b32_e32 v4, 2, v4                                // 00000000DD38: 24080882
	s_lshr_b32 s56, s7, 1                                      // 00000000DD3C: 8F388107
	s_lshl_b32 s59, s57, 1                                     // 00000000DD40: 8E3B8139
	s_mul_i32 s56, s56, s59                                    // 00000000DD44: 92383B38
	s_and_b32 s59, s7, 1                                       // 00000000DD48: 863B8107
	s_mul_i32 s59, s59, s58                                    // 00000000DD4C: 923B3A3B
	s_add_u32 s56, s56, s59                                    // 00000000DD50: 80383B38
	v_add_u32_e64 v4, v4, s56                                  // 00000000DD54: D1340004 00007104
	s_lshl_b32 s56, s58, 1                                     // 00000000DD5C: 8E38813A
	s_mul_i32 s56, s4, s56                                     // 00000000DD60: 92383804
	v_add_u32_e64 v4, v4, s56                                  // 00000000DD64: D1340004 00007104
	s_lshl_b32 s56, s57, 2                                     // 00000000DD6C: 8E388239
	s_mul_i32 s56, s2, s56                                     // 00000000DD70: 92383802
	v_add_u32_e64 v4, v4, s56                                  // 00000000DD74: D1340004 00007104
	v_mov_b32_e32 v2, v5                                       // 00000000DD7C: 7E040305
	s_waitcnt vmcnt(0)                                         // 00000000DD80: BF8C0F70
	s_waitcnt lgkmcnt(0)                                       // 00000000DD84: BF8CC07F
	v_lshlrev_b32_e32 v16, 2, v0                               // 00000000DD88: 24200082
	s_mul_i32 s56, s7, 0x840                                   // 00000000DD8C: 9238FF07 00000840
	v_add_u32_e32 v16, s56, v16                                // 00000000DD94: 68202038
	v_lshlrev_b32_e32 v16, 2, v16                              // 00000000DD98: 24202082
	v_lshrrev_b32_e32 v28, 5, v0                               // 00000000DD9C: 20380085
	v_mul_i32_i24_e32 v3, 4, v28                               // 00000000DDA0: 0C063884
	v_and_b32_e32 v28, 31, v0                                  // 00000000DDA4: 2638009F
	v_lshrrev_b32_e32 v28, 2, v28                              // 00000000DDA8: 20383882
	v_mul_i32_i24_e32 v28, 8, v28                              // 00000000DDAC: 0C383888
	v_add_u32_e32 v3, v28, v3                                  // 00000000DDB0: 6806071C
	v_and_b32_e32 v28, 31, v0                                  // 00000000DDB4: 2638009F
	v_mul_i32_i24_e32 v28, 64, v28                             // 00000000DDB8: 0C3838C0
	v_add_u32_e32 v3, v28, v3                                  // 00000000DDBC: 6806071C
	s_mul_i32 s56, s7, 0x840                                   // 00000000DDC0: 9238FF07 00000840
	v_add_u32_e32 v3, s56, v3                                  // 00000000DDC8: 68060638
	v_lshlrev_b32_e32 v3, 2, v3                                // 00000000DDCC: 24060682
	s_mul_i32 s56, 0, s94                                      // 00000000DDD0: 92385E80
	v_add_u32_e64 v2, v2, s56                                  // 00000000DDD4: D1340002 00007102
	v_mov_b32_e32 v28, v50                                     // 00000000DDDC: 7E380332
	v_mov_b32_e32 v29, v51                                     // 00000000DDE0: 7E3A0333
	v_mov_b32_e32 v30, v52                                     // 00000000DDE4: 7E3C0334
	v_mov_b32_e32 v31, v53                                     // 00000000DDE8: 7E3E0335
	ds_write_b128 v16, v[28:31]                                // 00000000DDEC: D9BE0000 00001C10
	v_mov_b32_e32 v28, v54                                     // 00000000DDF4: 7E380336
	v_mov_b32_e32 v29, v55                                     // 00000000DDF8: 7E3A0337
	v_mov_b32_e32 v30, v56                                     // 00000000DDFC: 7E3C0338
	v_mov_b32_e32 v31, v57                                     // 00000000DE00: 7E3E0339
	ds_write_b128 v16, v[28:31] offset:1056                    // 00000000DE04: D9BE0420 00001C10
	v_mov_b32_e32 v28, v58                                     // 00000000DE0C: 7E38033A
	v_mov_b32_e32 v29, v59                                     // 00000000DE10: 7E3A033B
	v_mov_b32_e32 v30, v60                                     // 00000000DE14: 7E3C033C
	v_mov_b32_e32 v31, v61                                     // 00000000DE18: 7E3E033D
	ds_write_b128 v16, v[28:31] offset:2112                    // 00000000DE1C: D9BE0840 00001C10
	v_mov_b32_e32 v28, v62                                     // 00000000DE24: 7E38033E
	v_mov_b32_e32 v29, v63                                     // 00000000DE28: 7E3A033F
	v_mov_b32_e32 v30, v64                                     // 00000000DE2C: 7E3C0340
	v_mov_b32_e32 v31, v65                                     // 00000000DE30: 7E3E0341
	ds_write_b128 v16, v[28:31] offset:3168                    // 00000000DE34: D9BE0C60 00001C10
	v_mov_b32_e32 v28, v66                                     // 00000000DE3C: 7E380342
	v_mov_b32_e32 v29, v67                                     // 00000000DE40: 7E3A0343
	v_mov_b32_e32 v30, v68                                     // 00000000DE44: 7E3C0344
	v_mov_b32_e32 v31, v69                                     // 00000000DE48: 7E3E0345
	ds_write_b128 v16, v[28:31] offset:4224                    // 00000000DE4C: D9BE1080 00001C10
	v_mov_b32_e32 v28, v70                                     // 00000000DE54: 7E380346
	v_mov_b32_e32 v29, v71                                     // 00000000DE58: 7E3A0347
	v_mov_b32_e32 v30, v72                                     // 00000000DE5C: 7E3C0348
	v_mov_b32_e32 v31, v73                                     // 00000000DE60: 7E3E0349
	ds_write_b128 v16, v[28:31] offset:5280                    // 00000000DE64: D9BE14A0 00001C10
	v_mov_b32_e32 v28, v74                                     // 00000000DE6C: 7E38034A
	v_mov_b32_e32 v29, v75                                     // 00000000DE70: 7E3A034B
	v_mov_b32_e32 v30, v76                                     // 00000000DE74: 7E3C034C
	v_mov_b32_e32 v31, v77                                     // 00000000DE78: 7E3E034D
	ds_write_b128 v16, v[28:31] offset:6336                    // 00000000DE7C: D9BE18C0 00001C10
	v_mov_b32_e32 v28, v78                                     // 00000000DE84: 7E38034E
	v_mov_b32_e32 v29, v79                                     // 00000000DE88: 7E3A034F
	v_mov_b32_e32 v30, v80                                     // 00000000DE8C: 7E3C0350
	v_mov_b32_e32 v31, v81                                     // 00000000DE90: 7E3E0351
	ds_write_b128 v16, v[28:31] offset:7392                    // 00000000DE94: D9BE1CE0 00001C10
	s_waitcnt lgkmcnt(4)                                       // 00000000DE9C: BF8CC47F
	ds_read_b128 v[50:53], v3                                  // 00000000DEA0: D9FE0000 32000003
	ds_read_b128 v[54:57], v3 offset:32                        // 00000000DEA8: D9FE0020 36000003
	ds_read_b128 v[58:61], v3 offset:64                        // 00000000DEB0: D9FE0040 3A000003
	ds_read_b128 v[62:65], v3 offset:96                        // 00000000DEB8: D9FE0060 3E000003
	s_waitcnt lgkmcnt(4)                                       // 00000000DEC0: BF8CC47F
	ds_read_b128 v[66:69], v3 offset:128                       // 00000000DEC4: D9FE0080 42000003
	ds_read_b128 v[70:73], v3 offset:160                       // 00000000DECC: D9FE00A0 46000003
	ds_read_b128 v[74:77], v3 offset:192                       // 00000000DED4: D9FE00C0 4A000003
	ds_read_b128 v[78:81], v3 offset:224                       // 00000000DEDC: D9FE00E0 4E000003
	s_waitcnt lgkmcnt(0)                                       // 00000000DEE4: BF8CC07F
	v_mov_b32_e32 v5, v2                                       // 00000000DEE8: 7E0A0302
	buffer_store_dwordx4 v[50:53], v5, s[8:11], 0 offen        // 00000000DEEC: E07C1000 80023205
	v_add_u32_e32 v5, 0x1000, v5                               // 00000000DEF4: 680A0AFF 00001000
	buffer_store_dwordx4 v[54:57], v5, s[8:11], 0 offen        // 00000000DEFC: E07C1000 80023605
	v_add_u32_e32 v5, 0x1000, v5                               // 00000000DF04: 680A0AFF 00001000
	buffer_store_dwordx4 v[58:61], v5, s[8:11], 0 offen        // 00000000DF0C: E07C1000 80023A05
	v_add_u32_e32 v5, 0x1000, v5                               // 00000000DF14: 680A0AFF 00001000
	buffer_store_dwordx4 v[62:65], v5, s[8:11], 0 offen        // 00000000DF1C: E07C1000 80023E05
	v_add_u32_e32 v5, 0x1000, v5                               // 00000000DF24: 680A0AFF 00001000
	buffer_store_dwordx4 v[66:69], v5, s[8:11], 0 offen        // 00000000DF2C: E07C1000 80024205
	v_add_u32_e32 v5, 0x1000, v5                               // 00000000DF34: 680A0AFF 00001000
	buffer_store_dwordx4 v[70:73], v5, s[8:11], 0 offen        // 00000000DF3C: E07C1000 80024605
	v_add_u32_e32 v5, 0x1000, v5                               // 00000000DF44: 680A0AFF 00001000
	buffer_store_dwordx4 v[74:77], v5, s[8:11], 0 offen        // 00000000DF4C: E07C1000 80024A05
	v_add_u32_e32 v5, 0x1000, v5                               // 00000000DF54: 680A0AFF 00001000
	buffer_store_dwordx4 v[78:81], v5, s[8:11], 0 offen        // 00000000DF5C: E07C1000 80024E05
	v_add_u32_e32 v5, 0x1000, v5                               // 00000000DF64: 680A0AFF 00001000
	v_mov_b32_e32 v28, v82                                     // 00000000DF6C: 7E380352
	v_mov_b32_e32 v29, v83                                     // 00000000DF70: 7E3A0353
	v_mov_b32_e32 v30, v84                                     // 00000000DF74: 7E3C0354
	v_mov_b32_e32 v31, v85                                     // 00000000DF78: 7E3E0355
	ds_write_b128 v16, v[28:31]                                // 00000000DF7C: D9BE0000 00001C10
	v_mov_b32_e32 v28, v86                                     // 00000000DF84: 7E380356
	v_mov_b32_e32 v29, v87                                     // 00000000DF88: 7E3A0357
	v_mov_b32_e32 v30, v88                                     // 00000000DF8C: 7E3C0358
	v_mov_b32_e32 v31, v89                                     // 00000000DF90: 7E3E0359
	ds_write_b128 v16, v[28:31] offset:1056                    // 00000000DF94: D9BE0420 00001C10
	v_mov_b32_e32 v28, v90                                     // 00000000DF9C: 7E38035A
	v_mov_b32_e32 v29, v91                                     // 00000000DFA0: 7E3A035B
	v_mov_b32_e32 v30, v92                                     // 00000000DFA4: 7E3C035C
	v_mov_b32_e32 v31, v93                                     // 00000000DFA8: 7E3E035D
	ds_write_b128 v16, v[28:31] offset:2112                    // 00000000DFAC: D9BE0840 00001C10
	v_mov_b32_e32 v28, v94                                     // 00000000DFB4: 7E38035E
	v_mov_b32_e32 v29, v95                                     // 00000000DFB8: 7E3A035F
	v_mov_b32_e32 v30, v96                                     // 00000000DFBC: 7E3C0360
	v_mov_b32_e32 v31, v97                                     // 00000000DFC0: 7E3E0361
	ds_write_b128 v16, v[28:31] offset:3168                    // 00000000DFC4: D9BE0C60 00001C10
	v_mov_b32_e32 v28, v98                                     // 00000000DFCC: 7E380362
	v_mov_b32_e32 v29, v99                                     // 00000000DFD0: 7E3A0363
	v_mov_b32_e32 v30, v100                                    // 00000000DFD4: 7E3C0364
	v_mov_b32_e32 v31, v101                                    // 00000000DFD8: 7E3E0365
	ds_write_b128 v16, v[28:31] offset:4224                    // 00000000DFDC: D9BE1080 00001C10
	v_mov_b32_e32 v28, v102                                    // 00000000DFE4: 7E380366
	v_mov_b32_e32 v29, v103                                    // 00000000DFE8: 7E3A0367
	v_mov_b32_e32 v30, v104                                    // 00000000DFEC: 7E3C0368
	v_mov_b32_e32 v31, v105                                    // 00000000DFF0: 7E3E0369
	ds_write_b128 v16, v[28:31] offset:5280                    // 00000000DFF4: D9BE14A0 00001C10
	v_mov_b32_e32 v28, v106                                    // 00000000DFFC: 7E38036A
	v_mov_b32_e32 v29, v107                                    // 00000000E000: 7E3A036B
	v_mov_b32_e32 v30, v108                                    // 00000000E004: 7E3C036C
	v_mov_b32_e32 v31, v109                                    // 00000000E008: 7E3E036D
	ds_write_b128 v16, v[28:31] offset:6336                    // 00000000E00C: D9BE18C0 00001C10
	v_mov_b32_e32 v28, v110                                    // 00000000E014: 7E38036E
	v_mov_b32_e32 v29, v111                                    // 00000000E018: 7E3A036F
	v_mov_b32_e32 v30, v112                                    // 00000000E01C: 7E3C0370
	v_mov_b32_e32 v31, v113                                    // 00000000E020: 7E3E0371
	ds_write_b128 v16, v[28:31] offset:7392                    // 00000000E024: D9BE1CE0 00001C10
	s_waitcnt lgkmcnt(4)                                       // 00000000E02C: BF8CC47F
	ds_read_b128 v[50:53], v3                                  // 00000000E030: D9FE0000 32000003
	ds_read_b128 v[54:57], v3 offset:32                        // 00000000E038: D9FE0020 36000003
	ds_read_b128 v[58:61], v3 offset:64                        // 00000000E040: D9FE0040 3A000003
	ds_read_b128 v[62:65], v3 offset:96                        // 00000000E048: D9FE0060 3E000003
	s_waitcnt lgkmcnt(4)                                       // 00000000E050: BF8CC47F
	ds_read_b128 v[66:69], v3 offset:128                       // 00000000E054: D9FE0080 42000003
	ds_read_b128 v[70:73], v3 offset:160                       // 00000000E05C: D9FE00A0 46000003
	ds_read_b128 v[74:77], v3 offset:192                       // 00000000E064: D9FE00C0 4A000003
	ds_read_b128 v[78:81], v3 offset:224                       // 00000000E06C: D9FE00E0 4E000003
	s_waitcnt lgkmcnt(0)                                       // 00000000E074: BF8CC07F
	v_mov_b32_e32 v5, v2                                       // 00000000E078: 7E0A0302
	buffer_store_dwordx4 v[50:53], v5, s[8:11], 0 offen offset:512// 00000000E07C: E07C1200 80023205
	v_add_u32_e32 v5, 0x1000, v5                               // 00000000E084: 680A0AFF 00001000
	buffer_store_dwordx4 v[54:57], v5, s[8:11], 0 offen offset:512// 00000000E08C: E07C1200 80023605
	v_add_u32_e32 v5, 0x1000, v5                               // 00000000E094: 680A0AFF 00001000
	buffer_store_dwordx4 v[58:61], v5, s[8:11], 0 offen offset:512// 00000000E09C: E07C1200 80023A05
	v_add_u32_e32 v5, 0x1000, v5                               // 00000000E0A4: 680A0AFF 00001000
	buffer_store_dwordx4 v[62:65], v5, s[8:11], 0 offen offset:512// 00000000E0AC: E07C1200 80023E05
	v_add_u32_e32 v5, 0x1000, v5                               // 00000000E0B4: 680A0AFF 00001000
	buffer_store_dwordx4 v[66:69], v5, s[8:11], 0 offen offset:512// 00000000E0BC: E07C1200 80024205
	v_add_u32_e32 v5, 0x1000, v5                               // 00000000E0C4: 680A0AFF 00001000
	buffer_store_dwordx4 v[70:73], v5, s[8:11], 0 offen offset:512// 00000000E0CC: E07C1200 80024605
	v_add_u32_e32 v5, 0x1000, v5                               // 00000000E0D4: 680A0AFF 00001000
	buffer_store_dwordx4 v[74:77], v5, s[8:11], 0 offen offset:512// 00000000E0DC: E07C1200 80024A05
	v_add_u32_e32 v5, 0x1000, v5                               // 00000000E0E4: 680A0AFF 00001000
	buffer_store_dwordx4 v[78:81], v5, s[8:11], 0 offen offset:512// 00000000E0EC: E07C1200 80024E05
	v_add_u32_e32 v5, 0x1000, v5                               // 00000000E0F4: 680A0AFF 00001000
	v_mov_b32_e32 v28, v114                                    // 00000000E0FC: 7E380372
	v_mov_b32_e32 v29, v115                                    // 00000000E100: 7E3A0373
	v_mov_b32_e32 v30, v116                                    // 00000000E104: 7E3C0374
	v_mov_b32_e32 v31, v117                                    // 00000000E108: 7E3E0375
	ds_write_b128 v16, v[28:31]                                // 00000000E10C: D9BE0000 00001C10
	v_mov_b32_e32 v28, v118                                    // 00000000E114: 7E380376
	v_mov_b32_e32 v29, v119                                    // 00000000E118: 7E3A0377
	v_mov_b32_e32 v30, v120                                    // 00000000E11C: 7E3C0378
	v_mov_b32_e32 v31, v121                                    // 00000000E120: 7E3E0379
	ds_write_b128 v16, v[28:31] offset:1056                    // 00000000E124: D9BE0420 00001C10
	v_mov_b32_e32 v28, v122                                    // 00000000E12C: 7E38037A
	v_mov_b32_e32 v29, v123                                    // 00000000E130: 7E3A037B
	v_mov_b32_e32 v30, v124                                    // 00000000E134: 7E3C037C
	v_mov_b32_e32 v31, v125                                    // 00000000E138: 7E3E037D
	ds_write_b128 v16, v[28:31] offset:2112                    // 00000000E13C: D9BE0840 00001C10
	v_mov_b32_e32 v28, v126                                    // 00000000E144: 7E38037E
	v_mov_b32_e32 v29, v127                                    // 00000000E148: 7E3A037F
	v_mov_b32_e32 v30, v128                                    // 00000000E14C: 7E3C0380
	v_mov_b32_e32 v31, v129                                    // 00000000E150: 7E3E0381
	ds_write_b128 v16, v[28:31] offset:3168                    // 00000000E154: D9BE0C60 00001C10
	v_mov_b32_e32 v28, v130                                    // 00000000E15C: 7E380382
	v_mov_b32_e32 v29, v131                                    // 00000000E160: 7E3A0383
	v_mov_b32_e32 v30, v132                                    // 00000000E164: 7E3C0384
	v_mov_b32_e32 v31, v133                                    // 00000000E168: 7E3E0385
	ds_write_b128 v16, v[28:31] offset:4224                    // 00000000E16C: D9BE1080 00001C10
	v_mov_b32_e32 v28, v134                                    // 00000000E174: 7E380386
	v_mov_b32_e32 v29, v135                                    // 00000000E178: 7E3A0387
	v_mov_b32_e32 v30, v136                                    // 00000000E17C: 7E3C0388
	v_mov_b32_e32 v31, v137                                    // 00000000E180: 7E3E0389
	ds_write_b128 v16, v[28:31] offset:5280                    // 00000000E184: D9BE14A0 00001C10
	v_mov_b32_e32 v28, v138                                    // 00000000E18C: 7E38038A
	v_mov_b32_e32 v29, v139                                    // 00000000E190: 7E3A038B
	v_mov_b32_e32 v30, v140                                    // 00000000E194: 7E3C038C
	v_mov_b32_e32 v31, v141                                    // 00000000E198: 7E3E038D
	ds_write_b128 v16, v[28:31] offset:6336                    // 00000000E19C: D9BE18C0 00001C10
	v_mov_b32_e32 v28, v142                                    // 00000000E1A4: 7E38038E
	v_mov_b32_e32 v29, v143                                    // 00000000E1A8: 7E3A038F
	v_mov_b32_e32 v30, v144                                    // 00000000E1AC: 7E3C0390
	v_mov_b32_e32 v31, v145                                    // 00000000E1B0: 7E3E0391
	ds_write_b128 v16, v[28:31] offset:7392                    // 00000000E1B4: D9BE1CE0 00001C10
	s_waitcnt lgkmcnt(4)                                       // 00000000E1BC: BF8CC47F
	ds_read_b128 v[50:53], v3                                  // 00000000E1C0: D9FE0000 32000003
	ds_read_b128 v[54:57], v3 offset:32                        // 00000000E1C8: D9FE0020 36000003
	ds_read_b128 v[58:61], v3 offset:64                        // 00000000E1D0: D9FE0040 3A000003
	ds_read_b128 v[62:65], v3 offset:96                        // 00000000E1D8: D9FE0060 3E000003
	s_waitcnt lgkmcnt(4)                                       // 00000000E1E0: BF8CC47F
	ds_read_b128 v[66:69], v3 offset:128                       // 00000000E1E4: D9FE0080 42000003
	ds_read_b128 v[70:73], v3 offset:160                       // 00000000E1EC: D9FE00A0 46000003
	ds_read_b128 v[74:77], v3 offset:192                       // 00000000E1F4: D9FE00C0 4A000003
	ds_read_b128 v[78:81], v3 offset:224                       // 00000000E1FC: D9FE00E0 4E000003
	s_waitcnt lgkmcnt(0)                                       // 00000000E204: BF8CC07F
	v_mov_b32_e32 v5, v2                                       // 00000000E208: 7E0A0302
	buffer_store_dwordx4 v[50:53], v5, s[8:11], 0 offen offset:1024// 00000000E20C: E07C1400 80023205
	v_add_u32_e32 v5, 0x1000, v5                               // 00000000E214: 680A0AFF 00001000
	buffer_store_dwordx4 v[54:57], v5, s[8:11], 0 offen offset:1024// 00000000E21C: E07C1400 80023605
	v_add_u32_e32 v5, 0x1000, v5                               // 00000000E224: 680A0AFF 00001000
	buffer_store_dwordx4 v[58:61], v5, s[8:11], 0 offen offset:1024// 00000000E22C: E07C1400 80023A05
	v_add_u32_e32 v5, 0x1000, v5                               // 00000000E234: 680A0AFF 00001000
	buffer_store_dwordx4 v[62:65], v5, s[8:11], 0 offen offset:1024// 00000000E23C: E07C1400 80023E05
	v_add_u32_e32 v5, 0x1000, v5                               // 00000000E244: 680A0AFF 00001000
	buffer_store_dwordx4 v[66:69], v5, s[8:11], 0 offen offset:1024// 00000000E24C: E07C1400 80024205
	v_add_u32_e32 v5, 0x1000, v5                               // 00000000E254: 680A0AFF 00001000
	buffer_store_dwordx4 v[70:73], v5, s[8:11], 0 offen offset:1024// 00000000E25C: E07C1400 80024605
	v_add_u32_e32 v5, 0x1000, v5                               // 00000000E264: 680A0AFF 00001000
	buffer_store_dwordx4 v[74:77], v5, s[8:11], 0 offen offset:1024// 00000000E26C: E07C1400 80024A05
	v_add_u32_e32 v5, 0x1000, v5                               // 00000000E274: 680A0AFF 00001000
	buffer_store_dwordx4 v[78:81], v5, s[8:11], 0 offen offset:1024// 00000000E27C: E07C1400 80024E05
	v_add_u32_e32 v5, 0x1000, v5                               // 00000000E284: 680A0AFF 00001000
	v_mov_b32_e32 v28, v146                                    // 00000000E28C: 7E380392
	v_mov_b32_e32 v29, v147                                    // 00000000E290: 7E3A0393
	v_mov_b32_e32 v30, v148                                    // 00000000E294: 7E3C0394
	v_mov_b32_e32 v31, v149                                    // 00000000E298: 7E3E0395
	ds_write_b128 v16, v[28:31]                                // 00000000E29C: D9BE0000 00001C10
	v_mov_b32_e32 v28, v150                                    // 00000000E2A4: 7E380396
	v_mov_b32_e32 v29, v151                                    // 00000000E2A8: 7E3A0397
	v_mov_b32_e32 v30, v152                                    // 00000000E2AC: 7E3C0398
	v_mov_b32_e32 v31, v153                                    // 00000000E2B0: 7E3E0399
	ds_write_b128 v16, v[28:31] offset:1056                    // 00000000E2B4: D9BE0420 00001C10
	v_mov_b32_e32 v28, v154                                    // 00000000E2BC: 7E38039A
	v_mov_b32_e32 v29, v155                                    // 00000000E2C0: 7E3A039B
	v_mov_b32_e32 v30, v156                                    // 00000000E2C4: 7E3C039C
	v_mov_b32_e32 v31, v157                                    // 00000000E2C8: 7E3E039D
	ds_write_b128 v16, v[28:31] offset:2112                    // 00000000E2CC: D9BE0840 00001C10
	v_mov_b32_e32 v28, v158                                    // 00000000E2D4: 7E38039E
	v_mov_b32_e32 v29, v159                                    // 00000000E2D8: 7E3A039F
	v_mov_b32_e32 v30, v160                                    // 00000000E2DC: 7E3C03A0
	v_mov_b32_e32 v31, v161                                    // 00000000E2E0: 7E3E03A1
	ds_write_b128 v16, v[28:31] offset:3168                    // 00000000E2E4: D9BE0C60 00001C10
	v_mov_b32_e32 v28, v162                                    // 00000000E2EC: 7E3803A2
	v_mov_b32_e32 v29, v163                                    // 00000000E2F0: 7E3A03A3
	v_mov_b32_e32 v30, v164                                    // 00000000E2F4: 7E3C03A4
	v_mov_b32_e32 v31, v165                                    // 00000000E2F8: 7E3E03A5
	ds_write_b128 v16, v[28:31] offset:4224                    // 00000000E2FC: D9BE1080 00001C10
	v_mov_b32_e32 v28, v166                                    // 00000000E304: 7E3803A6
	v_mov_b32_e32 v29, v167                                    // 00000000E308: 7E3A03A7
	v_mov_b32_e32 v30, v168                                    // 00000000E30C: 7E3C03A8
	v_mov_b32_e32 v31, v169                                    // 00000000E310: 7E3E03A9
	ds_write_b128 v16, v[28:31] offset:5280                    // 00000000E314: D9BE14A0 00001C10
	v_mov_b32_e32 v28, v170                                    // 00000000E31C: 7E3803AA
	v_mov_b32_e32 v29, v171                                    // 00000000E320: 7E3A03AB
	v_mov_b32_e32 v30, v172                                    // 00000000E324: 7E3C03AC
	v_mov_b32_e32 v31, v173                                    // 00000000E328: 7E3E03AD
	ds_write_b128 v16, v[28:31] offset:6336                    // 00000000E32C: D9BE18C0 00001C10
	v_mov_b32_e32 v28, v174                                    // 00000000E334: 7E3803AE
	v_mov_b32_e32 v29, v175                                    // 00000000E338: 7E3A03AF
	v_mov_b32_e32 v30, v176                                    // 00000000E33C: 7E3C03B0
	v_mov_b32_e32 v31, v177                                    // 00000000E340: 7E3E03B1
	ds_write_b128 v16, v[28:31] offset:7392                    // 00000000E344: D9BE1CE0 00001C10
	s_waitcnt lgkmcnt(4)                                       // 00000000E34C: BF8CC47F
	ds_read_b128 v[50:53], v3                                  // 00000000E350: D9FE0000 32000003
	ds_read_b128 v[54:57], v3 offset:32                        // 00000000E358: D9FE0020 36000003
	ds_read_b128 v[58:61], v3 offset:64                        // 00000000E360: D9FE0040 3A000003
	ds_read_b128 v[62:65], v3 offset:96                        // 00000000E368: D9FE0060 3E000003
	s_waitcnt lgkmcnt(4)                                       // 00000000E370: BF8CC47F
	ds_read_b128 v[66:69], v3 offset:128                       // 00000000E374: D9FE0080 42000003
	ds_read_b128 v[70:73], v3 offset:160                       // 00000000E37C: D9FE00A0 46000003
	ds_read_b128 v[74:77], v3 offset:192                       // 00000000E384: D9FE00C0 4A000003
	ds_read_b128 v[78:81], v3 offset:224                       // 00000000E38C: D9FE00E0 4E000003
	s_waitcnt lgkmcnt(0)                                       // 00000000E394: BF8CC07F
	v_mov_b32_e32 v5, v2                                       // 00000000E398: 7E0A0302
	buffer_store_dwordx4 v[50:53], v5, s[8:11], 0 offen offset:1536// 00000000E39C: E07C1600 80023205
	v_add_u32_e32 v5, 0x1000, v5                               // 00000000E3A4: 680A0AFF 00001000
	buffer_store_dwordx4 v[54:57], v5, s[8:11], 0 offen offset:1536// 00000000E3AC: E07C1600 80023605
	v_add_u32_e32 v5, 0x1000, v5                               // 00000000E3B4: 680A0AFF 00001000
	buffer_store_dwordx4 v[58:61], v5, s[8:11], 0 offen offset:1536// 00000000E3BC: E07C1600 80023A05
	v_add_u32_e32 v5, 0x1000, v5                               // 00000000E3C4: 680A0AFF 00001000
	buffer_store_dwordx4 v[62:65], v5, s[8:11], 0 offen offset:1536// 00000000E3CC: E07C1600 80023E05
	v_add_u32_e32 v5, 0x1000, v5                               // 00000000E3D4: 680A0AFF 00001000
	buffer_store_dwordx4 v[66:69], v5, s[8:11], 0 offen offset:1536// 00000000E3DC: E07C1600 80024205
	v_add_u32_e32 v5, 0x1000, v5                               // 00000000E3E4: 680A0AFF 00001000
	buffer_store_dwordx4 v[70:73], v5, s[8:11], 0 offen offset:1536// 00000000E3EC: E07C1600 80024605
	v_add_u32_e32 v5, 0x1000, v5                               // 00000000E3F4: 680A0AFF 00001000
	buffer_store_dwordx4 v[74:77], v5, s[8:11], 0 offen offset:1536// 00000000E3FC: E07C1600 80024A05
	v_add_u32_e32 v5, 0x1000, v5                               // 00000000E404: 680A0AFF 00001000
	buffer_store_dwordx4 v[78:81], v5, s[8:11], 0 offen offset:1536// 00000000E40C: E07C1600 80024E05
	v_add_u32_e32 v5, 0x1000, v5                               // 00000000E414: 680A0AFF 00001000
	buffer_store_dword v1, v4, s[12:15], 0 offen               // 00000000E41C: E0701000 80030104
	s_branch label_C954                                        // 00000000E424: BF820209

000000000000e428 <label_C130>:
	s_mul_i32 s56, 0x800, 16                                   // 00000000E428: 923890FF 00000800
	s_mul_i32 s57, 0x400, 16                                   // 00000000E430: 923990FF 00000400
	s_cmp_eq_u32 s67, 1                                        // 00000000E438: BF068143
	s_cselect_b32 s75, s57, s56                                // 00000000E43C: 854B3839
	s_mul_i32 s94, s67, s75                                    // 00000000E440: 925E4B43
	s_mul_i32 s93, s92, s75                                    // 00000000E444: 925D4B5C
	s_lshr_b32 s56, s65, 4                                     // 00000000E448: 8F388441
	s_mul_i32 s56, s93, s56                                    // 00000000E44C: 9238385D
	s_lshr_b32 s57, s80, 4                                     // 00000000E450: 8F398450
	s_cmp_lt_u32 s7, s57                                       // 00000000E454: BF0A3907
	s_cselect_b32 s10, s56, 0                                  // 00000000E458: 850A8038
	s_mul_i32 s56, s3, s56                                     // 00000000E45C: 92383803
	s_add_u32 s8, s56, s8                                      // 00000000E460: 80080838
	s_addc_u32 s9, 0, s9                                       // 00000000E464: 82090980
	v_lshrrev_b32_e32 v28, 5, v0                               // 00000000E468: 20380085
	s_mov_b32 s57, 0x800                                       // 00000000E46C: BEB900FF 00000800
	v_mul_i32_i24_e32 v28, s57, v28                            // 00000000E474: 0C383839
	v_and_b32_e32 v5, 31, v0                                   // 00000000E478: 260A009F
	v_lshlrev_b32_e32 v5, 4, v5                                // 00000000E47C: 240A0A84
	v_add_u32_e32 v5, v5, v28                                  // 00000000E480: 680A3905
	s_lshr_b32 s56, s7, 1                                      // 00000000E484: 8F388107
	s_lshl_b32 s57, s93, 1                                     // 00000000E488: 8E39815D
	s_mul_i32 s56, s56, s57                                    // 00000000E48C: 92383938
	s_and_b32 s57, s7, 1                                       // 00000000E490: 86398107
	s_mul_i32 s57, s57, s75                                    // 00000000E494: 92394B39
	s_add_u32 s56, s56, s57                                    // 00000000E498: 80383938
	v_add_u32_e64 v5, v5, s56                                  // 00000000E49C: D1340005 00007105
	s_lshl_b32 s56, s75, 1                                     // 00000000E4A4: 8E38814B
	s_mul_i32 s56, s4, s56                                     // 00000000E4A8: 92383804
	v_add_u32_e64 v5, v5, s56                                  // 00000000E4AC: D1340005 00007105
	s_lshl_b32 s56, s93, 2                                     // 00000000E4B4: 8E38825D
	s_mul_i32 s56, s2, s56                                     // 00000000E4B8: 92383802
	v_add_u32_e64 v5, v5, s56                                  // 00000000E4BC: D1340005 00007105
	s_mul_i32 s57, 4, 16                                       // 00000000E4C4: 92399084
	s_lshr_b32 s56, s65, 4                                     // 00000000E4C8: 8F388441
	s_mul_i32 s56, s57, s56                                    // 00000000E4CC: 92383839
	s_mul_i32 s56, s3, s56                                     // 00000000E4D0: 92383803
	s_add_u32 s96, s56, s96                                    // 00000000E4D4: 80606038
	s_addc_u32 s97, 0, s97                                     // 00000000E4D8: 82616180
	v_and_b32_e32 v4, 15, v0                                   // 00000000E4DC: 2608008F
	v_lshlrev_b32_e32 v4, 2, v4                                // 00000000E4E0: 24080882
	s_lshr_b32 s56, s7, 1                                      // 00000000E4E4: 8F388107
	s_lshl_b32 s58, s57, 1                                     // 00000000E4E8: 8E3A8139
	s_mul_i32 s56, s56, s58                                    // 00000000E4EC: 92383A38
	s_and_b32 s58, s7, 1                                       // 00000000E4F0: 863A8107
	s_mul_i32 s58, s58, s57                                    // 00000000E4F4: 923A393A
	s_add_u32 s56, s56, s58                                    // 00000000E4F8: 80383A38
	v_add_u32_e64 v4, v4, s56                                  // 00000000E4FC: D1340004 00007104
	s_lshl_b32 s56, s57, 2                                     // 00000000E504: 8E388239
	s_mul_i32 s56, s2, s56                                     // 00000000E508: 92383802
	v_add_u32_e64 v4, v4, s56                                  // 00000000E50C: D1340004 00007104
	v_lshlrev_b32_e32 v2, 3, v0                                // 00000000E514: 24040083
	s_mov_b32 s56, 0x5000                                      // 00000000E518: BEB800FF 00005000
	s_mul_i32 s56, s7, s56                                     // 00000000E520: 92383807
	v_add_u32_e32 v2, s56, v2                                  // 00000000E524: 68040438
	v_cvt_pk_bf16_f32 v50, v50, v51                            // 00000000E528: D2680032 00026732
	v_cvt_pk_bf16_f32 v51, v52, v53                            // 00000000E530: D2680033 00026B34
	v_cvt_pk_bf16_f32 v52, v54, v55                            // 00000000E538: D2680034 00026F36
	v_cvt_pk_bf16_f32 v53, v56, v57                            // 00000000E540: D2680035 00027338
	v_cvt_pk_bf16_f32 v54, v58, v59                            // 00000000E548: D2680036 0002773A
	v_cvt_pk_bf16_f32 v55, v60, v61                            // 00000000E550: D2680037 00027B3C
	v_cvt_pk_bf16_f32 v56, v62, v63                            // 00000000E558: D2680038 00027F3E
	v_cvt_pk_bf16_f32 v57, v64, v65                            // 00000000E560: D2680039 00028340
	v_cvt_pk_bf16_f32 v58, v66, v67                            // 00000000E568: D268003A 00028742
	v_cvt_pk_bf16_f32 v59, v68, v69                            // 00000000E570: D268003B 00028B44
	v_cvt_pk_bf16_f32 v60, v70, v71                            // 00000000E578: D268003C 00028F46
	v_cvt_pk_bf16_f32 v61, v72, v73                            // 00000000E580: D268003D 00029348
	v_cvt_pk_bf16_f32 v62, v74, v75                            // 00000000E588: D268003E 0002974A
	v_cvt_pk_bf16_f32 v63, v76, v77                            // 00000000E590: D268003F 00029B4C
	v_cvt_pk_bf16_f32 v64, v78, v79                            // 00000000E598: D2680040 00029F4E
	v_cvt_pk_bf16_f32 v65, v80, v81                            // 00000000E5A0: D2680041 0002A350
	ds_write_b64 v2, v[50:51]                                  // 00000000E5A8: D89A0000 00003202
	s_mov_b32 s56, 0x208                                       // 00000000E5B0: BEB800FF 00000208
	v_add_u32_e32 v2, s56, v2                                  // 00000000E5B8: 68040438
	ds_write_b64 v2, v[52:53]                                  // 00000000E5BC: D89A0000 00003402
	s_mov_b32 s56, 0x208                                       // 00000000E5C4: BEB800FF 00000208
	v_add_u32_e32 v2, s56, v2                                  // 00000000E5CC: 68040438
	ds_write_b64 v2, v[54:55]                                  // 00000000E5D0: D89A0000 00003602
	s_mov_b32 s56, 0x208                                       // 00000000E5D8: BEB800FF 00000208
	v_add_u32_e32 v2, s56, v2                                  // 00000000E5E0: 68040438
	ds_write_b64 v2, v[56:57]                                  // 00000000E5E4: D89A0000 00003802
	s_mov_b32 s56, 0x208                                       // 00000000E5EC: BEB800FF 00000208
	v_add_u32_e32 v2, s56, v2                                  // 00000000E5F4: 68040438
	ds_write_b64 v2, v[58:59]                                  // 00000000E5F8: D89A0000 00003A02
	s_mov_b32 s56, 0x208                                       // 00000000E600: BEB800FF 00000208
	v_add_u32_e32 v2, s56, v2                                  // 00000000E608: 68040438
	ds_write_b64 v2, v[60:61]                                  // 00000000E60C: D89A0000 00003C02
	s_mov_b32 s56, 0x208                                       // 00000000E614: BEB800FF 00000208
	v_add_u32_e32 v2, s56, v2                                  // 00000000E61C: 68040438
	ds_write_b64 v2, v[62:63]                                  // 00000000E620: D89A0000 00003E02
	s_mov_b32 s56, 0x208                                       // 00000000E628: BEB800FF 00000208
	v_add_u32_e32 v2, s56, v2                                  // 00000000E630: 68040438
	ds_write_b64 v2, v[64:65]                                  // 00000000E634: D89A0000 00004002
	s_mov_b32 s56, 0x208                                       // 00000000E63C: BEB800FF 00000208
	v_add_u32_e32 v2, s56, v2                                  // 00000000E644: 68040438
	v_cvt_pk_bf16_f32 v50, v82, v83                            // 00000000E648: D2680032 0002A752
	v_cvt_pk_bf16_f32 v51, v84, v85                            // 00000000E650: D2680033 0002AB54
	v_cvt_pk_bf16_f32 v52, v86, v87                            // 00000000E658: D2680034 0002AF56
	v_cvt_pk_bf16_f32 v53, v88, v89                            // 00000000E660: D2680035 0002B358
	v_cvt_pk_bf16_f32 v54, v90, v91                            // 00000000E668: D2680036 0002B75A
	v_cvt_pk_bf16_f32 v55, v92, v93                            // 00000000E670: D2680037 0002BB5C
	v_cvt_pk_bf16_f32 v56, v94, v95                            // 00000000E678: D2680038 0002BF5E
	v_cvt_pk_bf16_f32 v57, v96, v97                            // 00000000E680: D2680039 0002C360
	v_cvt_pk_bf16_f32 v58, v98, v99                            // 00000000E688: D268003A 0002C762
	v_cvt_pk_bf16_f32 v59, v100, v101                          // 00000000E690: D268003B 0002CB64
	v_cvt_pk_bf16_f32 v60, v102, v103                          // 00000000E698: D268003C 0002CF66
	v_cvt_pk_bf16_f32 v61, v104, v105                          // 00000000E6A0: D268003D 0002D368
	v_cvt_pk_bf16_f32 v62, v106, v107                          // 00000000E6A8: D268003E 0002D76A
	v_cvt_pk_bf16_f32 v63, v108, v109                          // 00000000E6B0: D268003F 0002DB6C
	v_cvt_pk_bf16_f32 v64, v110, v111                          // 00000000E6B8: D2680040 0002DF6E
	v_cvt_pk_bf16_f32 v65, v112, v113                          // 00000000E6C0: D2680041 0002E370
	ds_write_b64 v2, v[50:51]                                  // 00000000E6C8: D89A0000 00003202
	s_mov_b32 s56, 0x208                                       // 00000000E6D0: BEB800FF 00000208
	v_add_u32_e32 v2, s56, v2                                  // 00000000E6D8: 68040438
	ds_write_b64 v2, v[52:53]                                  // 00000000E6DC: D89A0000 00003402
	s_mov_b32 s56, 0x208                                       // 00000000E6E4: BEB800FF 00000208
	v_add_u32_e32 v2, s56, v2                                  // 00000000E6EC: 68040438
	ds_write_b64 v2, v[54:55]                                  // 00000000E6F0: D89A0000 00003602
	s_mov_b32 s56, 0x208                                       // 00000000E6F8: BEB800FF 00000208
	v_add_u32_e32 v2, s56, v2                                  // 00000000E700: 68040438
	ds_write_b64 v2, v[56:57]                                  // 00000000E704: D89A0000 00003802
	s_mov_b32 s56, 0x208                                       // 00000000E70C: BEB800FF 00000208
	v_add_u32_e32 v2, s56, v2                                  // 00000000E714: 68040438
	ds_write_b64 v2, v[58:59]                                  // 00000000E718: D89A0000 00003A02
	s_mov_b32 s56, 0x208                                       // 00000000E720: BEB800FF 00000208
	v_add_u32_e32 v2, s56, v2                                  // 00000000E728: 68040438
	ds_write_b64 v2, v[60:61]                                  // 00000000E72C: D89A0000 00003C02
	s_mov_b32 s56, 0x208                                       // 00000000E734: BEB800FF 00000208
	v_add_u32_e32 v2, s56, v2                                  // 00000000E73C: 68040438
	ds_write_b64 v2, v[62:63]                                  // 00000000E740: D89A0000 00003E02
	s_mov_b32 s56, 0x208                                       // 00000000E748: BEB800FF 00000208
	v_add_u32_e32 v2, s56, v2                                  // 00000000E750: 68040438
	ds_write_b64 v2, v[64:65]                                  // 00000000E754: D89A0000 00004002
	s_mov_b32 s56, 0x208                                       // 00000000E75C: BEB800FF 00000208
	v_add_u32_e32 v2, s56, v2                                  // 00000000E764: 68040438
	v_cvt_pk_bf16_f32 v50, v114, v115                          // 00000000E768: D2680032 0002E772
	v_cvt_pk_bf16_f32 v51, v116, v117                          // 00000000E770: D2680033 0002EB74
	v_cvt_pk_bf16_f32 v52, v118, v119                          // 00000000E778: D2680034 0002EF76
	v_cvt_pk_bf16_f32 v53, v120, v121                          // 00000000E780: D2680035 0002F378
	v_cvt_pk_bf16_f32 v54, v122, v123                          // 00000000E788: D2680036 0002F77A
	v_cvt_pk_bf16_f32 v55, v124, v125                          // 00000000E790: D2680037 0002FB7C
	v_cvt_pk_bf16_f32 v56, v126, v127                          // 00000000E798: D2680038 0002FF7E
	v_cvt_pk_bf16_f32 v57, v128, v129                          // 00000000E7A0: D2680039 00030380
	v_cvt_pk_bf16_f32 v58, v130, v131                          // 00000000E7A8: D268003A 00030782
	v_cvt_pk_bf16_f32 v59, v132, v133                          // 00000000E7B0: D268003B 00030B84
	v_cvt_pk_bf16_f32 v60, v134, v135                          // 00000000E7B8: D268003C 00030F86
	v_cvt_pk_bf16_f32 v61, v136, v137                          // 00000000E7C0: D268003D 00031388
	v_cvt_pk_bf16_f32 v62, v138, v139                          // 00000000E7C8: D268003E 0003178A
	v_cvt_pk_bf16_f32 v63, v140, v141                          // 00000000E7D0: D268003F 00031B8C
	v_cvt_pk_bf16_f32 v64, v142, v143                          // 00000000E7D8: D2680040 00031F8E
	v_cvt_pk_bf16_f32 v65, v144, v145                          // 00000000E7E0: D2680041 00032390
	ds_write_b64 v2, v[50:51]                                  // 00000000E7E8: D89A0000 00003202
	s_mov_b32 s56, 0x208                                       // 00000000E7F0: BEB800FF 00000208
	v_add_u32_e32 v2, s56, v2                                  // 00000000E7F8: 68040438
	ds_write_b64 v2, v[52:53]                                  // 00000000E7FC: D89A0000 00003402
	s_mov_b32 s56, 0x208                                       // 00000000E804: BEB800FF 00000208
	v_add_u32_e32 v2, s56, v2                                  // 00000000E80C: 68040438
	ds_write_b64 v2, v[54:55]                                  // 00000000E810: D89A0000 00003602
	s_mov_b32 s56, 0x208                                       // 00000000E818: BEB800FF 00000208
	v_add_u32_e32 v2, s56, v2                                  // 00000000E820: 68040438
	ds_write_b64 v2, v[56:57]                                  // 00000000E824: D89A0000 00003802
	s_mov_b32 s56, 0x208                                       // 00000000E82C: BEB800FF 00000208
	v_add_u32_e32 v2, s56, v2                                  // 00000000E834: 68040438
	ds_write_b64 v2, v[58:59]                                  // 00000000E838: D89A0000 00003A02
	s_mov_b32 s56, 0x208                                       // 00000000E840: BEB800FF 00000208
	v_add_u32_e32 v2, s56, v2                                  // 00000000E848: 68040438
	ds_write_b64 v2, v[60:61]                                  // 00000000E84C: D89A0000 00003C02
	s_mov_b32 s56, 0x208                                       // 00000000E854: BEB800FF 00000208
	v_add_u32_e32 v2, s56, v2                                  // 00000000E85C: 68040438
	ds_write_b64 v2, v[62:63]                                  // 00000000E860: D89A0000 00003E02
	s_mov_b32 s56, 0x208                                       // 00000000E868: BEB800FF 00000208
	v_add_u32_e32 v2, s56, v2                                  // 00000000E870: 68040438
	ds_write_b64 v2, v[64:65]                                  // 00000000E874: D89A0000 00004002
	s_mov_b32 s56, 0x208                                       // 00000000E87C: BEB800FF 00000208
	v_add_u32_e32 v2, s56, v2                                  // 00000000E884: 68040438
	v_cvt_pk_bf16_f32 v50, v146, v147                          // 00000000E888: D2680032 00032792
	v_cvt_pk_bf16_f32 v51, v148, v149                          // 00000000E890: D2680033 00032B94
	v_cvt_pk_bf16_f32 v52, v150, v151                          // 00000000E898: D2680034 00032F96
	v_cvt_pk_bf16_f32 v53, v152, v153                          // 00000000E8A0: D2680035 00033398
	v_cvt_pk_bf16_f32 v54, v154, v155                          // 00000000E8A8: D2680036 0003379A
	v_cvt_pk_bf16_f32 v55, v156, v157                          // 00000000E8B0: D2680037 00033B9C
	v_cvt_pk_bf16_f32 v56, v158, v159                          // 00000000E8B8: D2680038 00033F9E
	v_cvt_pk_bf16_f32 v57, v160, v161                          // 00000000E8C0: D2680039 000343A0
	v_cvt_pk_bf16_f32 v58, v162, v163                          // 00000000E8C8: D268003A 000347A2
	v_cvt_pk_bf16_f32 v59, v164, v165                          // 00000000E8D0: D268003B 00034BA4
	v_cvt_pk_bf16_f32 v60, v166, v167                          // 00000000E8D8: D268003C 00034FA6
	v_cvt_pk_bf16_f32 v61, v168, v169                          // 00000000E8E0: D268003D 000353A8
	v_cvt_pk_bf16_f32 v62, v170, v171                          // 00000000E8E8: D268003E 000357AA
	v_cvt_pk_bf16_f32 v63, v172, v173                          // 00000000E8F0: D268003F 00035BAC
	v_cvt_pk_bf16_f32 v64, v174, v175                          // 00000000E8F8: D2680040 00035FAE
	v_cvt_pk_bf16_f32 v65, v176, v177                          // 00000000E900: D2680041 000363B0
	ds_write_b64 v2, v[50:51]                                  // 00000000E908: D89A0000 00003202
	s_mov_b32 s56, 0x208                                       // 00000000E910: BEB800FF 00000208
	v_add_u32_e32 v2, s56, v2                                  // 00000000E918: 68040438
	ds_write_b64 v2, v[52:53]                                  // 00000000E91C: D89A0000 00003402
	s_mov_b32 s56, 0x208                                       // 00000000E924: BEB800FF 00000208
	v_add_u32_e32 v2, s56, v2                                  // 00000000E92C: 68040438
	ds_write_b64 v2, v[54:55]                                  // 00000000E930: D89A0000 00003602
	s_mov_b32 s56, 0x208                                       // 00000000E938: BEB800FF 00000208
	v_add_u32_e32 v2, s56, v2                                  // 00000000E940: 68040438
	ds_write_b64 v2, v[56:57]                                  // 00000000E944: D89A0000 00003802
	s_mov_b32 s56, 0x208                                       // 00000000E94C: BEB800FF 00000208
	v_add_u32_e32 v2, s56, v2                                  // 00000000E954: 68040438
	ds_write_b64 v2, v[58:59]                                  // 00000000E958: D89A0000 00003A02
	s_mov_b32 s56, 0x208                                       // 00000000E960: BEB800FF 00000208
	v_add_u32_e32 v2, s56, v2                                  // 00000000E968: 68040438
	ds_write_b64 v2, v[60:61]                                  // 00000000E96C: D89A0000 00003C02
	s_mov_b32 s56, 0x208                                       // 00000000E974: BEB800FF 00000208
	v_add_u32_e32 v2, s56, v2                                  // 00000000E97C: 68040438
	ds_write_b64 v2, v[62:63]                                  // 00000000E980: D89A0000 00003E02
	s_mov_b32 s56, 0x208                                       // 00000000E988: BEB800FF 00000208
	v_add_u32_e32 v2, s56, v2                                  // 00000000E990: 68040438
	ds_write_b64 v2, v[64:65]                                  // 00000000E994: D89A0000 00004002
	s_mov_b32 s56, 0x208                                       // 00000000E99C: BEB800FF 00000208
	v_add_u32_e32 v2, s56, v2                                  // 00000000E9A4: 68040438
	s_mov_b32 s56, 0x100                                       // 00000000E9A8: BEB800FF 00000100
	v_mul_i32_i24_e32 v2, s56, v0                              // 00000000E9B0: 0C040038
	v_lshrrev_b32_e32 v28, 1, v0                               // 00000000E9B4: 20380081
	v_lshlrev_b32_e32 v28, 3, v28                              // 00000000E9B8: 24383883
	v_add_u32_e32 v2, v2, v28                                  // 00000000E9BC: 68043902
	s_mov_b32 s57, 0x80                                        // 00000000E9C0: BEB900FF 00000080
	v_add_u32_e32 v3, s57, v2                                  // 00000000E9C8: 68060439
	s_mov_b32 s57, 0x5000                                      // 00000000E9CC: BEB900FF 00005000
	s_mul_i32 s56, s57, s7                                     // 00000000E9D4: 92380739
	v_add_u32_e32 v2, s56, v2                                  // 00000000E9D8: 68040438
	v_add_u32_e32 v3, s56, v3                                  // 00000000E9DC: 68060638
	s_mul_i32 s56, s75, s7                                     // 00000000E9E0: 9238074B
	v_lshlrev_b32_e32 v5, 4, v0                                // 00000000E9E4: 240A0084
	v_add_u32_e32 v5, s56, v5                                  // 00000000E9E8: 680A0A38
	s_lshl_b32 s56, s75, 2                                     // 00000000E9EC: 8E38824B
	s_mul_i32 s56, s2, s56                                     // 00000000E9F0: 92383802
	v_add_u32_e32 v5, s56, v5                                  // 00000000E9F4: 680A0A38
	s_waitcnt lgkmcnt(0)                                       // 00000000E9F8: BF8CC07F
	ds_read_b64 v[50:51], v2                                   // 00000000E9FC: D8EC0000 32000002
	ds_read_b64 v[52:53], v3                                   // 00000000EA04: D8EC0000 34000003
	ds_read_b64 v[54:55], v2 offset:8                          // 00000000EA0C: D8EC0008 36000002
	ds_read_b64 v[56:57], v3 offset:8                          // 00000000EA14: D8EC0008 38000003
	s_waitcnt lgkmcnt(2)                                       // 00000000EA1C: BF8CC27F
	buffer_store_dwordx4 v[50:53], v5, s[8:11], 0 offen        // 00000000EA20: E07C1000 80023205
	v_add_u32_e32 v5, 0x400, v5                                // 00000000EA28: 680A0AFF 00000400
	ds_read_b64 v[58:59], v2 offset:16                         // 00000000EA30: D8EC0010 3A000002
	ds_read_b64 v[60:61], v3 offset:16                         // 00000000EA38: D8EC0010 3C000003
	s_waitcnt lgkmcnt(2)                                       // 00000000EA40: BF8CC27F
	buffer_store_dwordx4 v[54:57], v5, s[8:11], 0 offen        // 00000000EA44: E07C1000 80023605
	v_add_u32_e32 v5, 0x400, v5                                // 00000000EA4C: 680A0AFF 00000400
	ds_read_b64 v[62:63], v2 offset:24                         // 00000000EA54: D8EC0018 3E000002
	ds_read_b64 v[64:65], v3 offset:24                         // 00000000EA5C: D8EC0018 40000003
	s_waitcnt lgkmcnt(2)                                       // 00000000EA64: BF8CC27F
	buffer_store_dwordx4 v[58:61], v5, s[8:11], 0 offen        // 00000000EA68: E07C1000 80023A05
	v_add_u32_e32 v5, 0x400, v5                                // 00000000EA70: 680A0AFF 00000400
	s_waitcnt lgkmcnt(0)                                       // 00000000EA78: BF8CC07F
	buffer_store_dwordx4 v[62:65], v5, s[8:11], 0 offen        // 00000000EA7C: E07C1000 80023E05
	v_add_u32_e32 v5, 0x400, v5                                // 00000000EA84: 680A0AFF 00000400
	ds_read_b64 v[66:67], v2 offset:32                         // 00000000EA8C: D8EC0020 42000002
	ds_read_b64 v[68:69], v3 offset:32                         // 00000000EA94: D8EC0020 44000003
	ds_read_b64 v[70:71], v2 offset:40                         // 00000000EA9C: D8EC0028 46000002
	ds_read_b64 v[72:73], v3 offset:40                         // 00000000EAA4: D8EC0028 48000003
	s_waitcnt lgkmcnt(2)                                       // 00000000EAAC: BF8CC27F
	buffer_store_dwordx4 v[66:69], v5, s[8:11], 0 offen        // 00000000EAB0: E07C1000 80024205
	v_add_u32_e32 v5, 0x400, v5                                // 00000000EAB8: 680A0AFF 00000400
	ds_read_b64 v[74:75], v2 offset:48                         // 00000000EAC0: D8EC0030 4A000002
	ds_read_b64 v[76:77], v3 offset:48                         // 00000000EAC8: D8EC0030 4C000003
	s_waitcnt lgkmcnt(2)                                       // 00000000EAD0: BF8CC27F
	buffer_store_dwordx4 v[70:73], v5, s[8:11], 0 offen        // 00000000EAD4: E07C1000 80024605
	v_add_u32_e32 v5, 0x400, v5                                // 00000000EADC: 680A0AFF 00000400
	ds_read_b64 v[78:79], v2 offset:56                         // 00000000EAE4: D8EC0038 4E000002
	ds_read_b64 v[80:81], v3 offset:56                         // 00000000EAEC: D8EC0038 50000003
	s_waitcnt lgkmcnt(2)                                       // 00000000EAF4: BF8CC27F
	buffer_store_dwordx4 v[74:77], v5, s[8:11], 0 offen        // 00000000EAF8: E07C1000 80024A05
	v_add_u32_e32 v5, 0x400, v5                                // 00000000EB00: 680A0AFF 00000400
	s_waitcnt lgkmcnt(0)                                       // 00000000EB08: BF8CC07F
	buffer_store_dwordx4 v[78:81], v5, s[8:11], 0 offen        // 00000000EB0C: E07C1000 80024E05
	v_add_u32_e32 v5, 0x400, v5                                // 00000000EB14: 680A0AFF 00000400
	ds_read_b64 v[82:83], v2 offset:64                         // 00000000EB1C: D8EC0040 52000002
	ds_read_b64 v[84:85], v3 offset:64                         // 00000000EB24: D8EC0040 54000003
	ds_read_b64 v[86:87], v2 offset:72                         // 00000000EB2C: D8EC0048 56000002
	ds_read_b64 v[88:89], v3 offset:72                         // 00000000EB34: D8EC0048 58000003
	s_waitcnt lgkmcnt(2)                                       // 00000000EB3C: BF8CC27F
	buffer_store_dwordx4 v[82:85], v5, s[8:11], 0 offen        // 00000000EB40: E07C1000 80025205
	v_add_u32_e32 v5, 0x400, v5                                // 00000000EB48: 680A0AFF 00000400
	ds_read_b64 v[90:91], v2 offset:80                         // 00000000EB50: D8EC0050 5A000002
	ds_read_b64 v[92:93], v3 offset:80                         // 00000000EB58: D8EC0050 5C000003
	s_waitcnt lgkmcnt(2)                                       // 00000000EB60: BF8CC27F
	buffer_store_dwordx4 v[86:89], v5, s[8:11], 0 offen        // 00000000EB64: E07C1000 80025605
	v_add_u32_e32 v5, 0x400, v5                                // 00000000EB6C: 680A0AFF 00000400
	ds_read_b64 v[94:95], v2 offset:88                         // 00000000EB74: D8EC0058 5E000002
	ds_read_b64 v[96:97], v3 offset:88                         // 00000000EB7C: D8EC0058 60000003
	s_waitcnt lgkmcnt(2)                                       // 00000000EB84: BF8CC27F
	buffer_store_dwordx4 v[90:93], v5, s[8:11], 0 offen        // 00000000EB88: E07C1000 80025A05
	v_add_u32_e32 v5, 0x400, v5                                // 00000000EB90: 680A0AFF 00000400
	s_waitcnt lgkmcnt(0)                                       // 00000000EB98: BF8CC07F
	buffer_store_dwordx4 v[94:97], v5, s[8:11], 0 offen        // 00000000EB9C: E07C1000 80025E05
	v_add_u32_e32 v5, 0x400, v5                                // 00000000EBA4: 680A0AFF 00000400
	ds_read_b64 v[98:99], v2 offset:96                         // 00000000EBAC: D8EC0060 62000002
	ds_read_b64 v[100:101], v3 offset:96                       // 00000000EBB4: D8EC0060 64000003
	ds_read_b64 v[102:103], v2 offset:104                      // 00000000EBBC: D8EC0068 66000002
	ds_read_b64 v[104:105], v3 offset:104                      // 00000000EBC4: D8EC0068 68000003
	s_waitcnt lgkmcnt(2)                                       // 00000000EBCC: BF8CC27F
	buffer_store_dwordx4 v[98:101], v5, s[8:11], 0 offen       // 00000000EBD0: E07C1000 80026205
	v_add_u32_e32 v5, 0x400, v5                                // 00000000EBD8: 680A0AFF 00000400
	ds_read_b64 v[106:107], v2 offset:112                      // 00000000EBE0: D8EC0070 6A000002
	ds_read_b64 v[108:109], v3 offset:112                      // 00000000EBE8: D8EC0070 6C000003
	s_waitcnt lgkmcnt(2)                                       // 00000000EBF0: BF8CC27F
	buffer_store_dwordx4 v[102:105], v5, s[8:11], 0 offen      // 00000000EBF4: E07C1000 80026605
	v_add_u32_e32 v5, 0x400, v5                                // 00000000EBFC: 680A0AFF 00000400
	ds_read_b64 v[110:111], v2 offset:120                      // 00000000EC04: D8EC0078 6E000002
	ds_read_b64 v[112:113], v3 offset:120                      // 00000000EC0C: D8EC0078 70000003
	s_waitcnt lgkmcnt(2)                                       // 00000000EC14: BF8CC27F
	buffer_store_dwordx4 v[106:109], v5, s[8:11], 0 offen      // 00000000EC18: E07C1000 80026A05
	v_add_u32_e32 v5, 0x400, v5                                // 00000000EC20: 680A0AFF 00000400
	s_waitcnt lgkmcnt(0)                                       // 00000000EC28: BF8CC07F
	buffer_store_dwordx4 v[110:113], v5, s[8:11], 0 offen      // 00000000EC2C: E07C1000 80026E05
	v_add_u32_e32 v5, 0x400, v5                                // 00000000EC34: 680A0AFF 00000400
	s_cmp_eq_u32 s95, 1                                        // 00000000EC3C: BF06815F
	s_cbranch_scc1 label_C954                                  // 00000000EC40: BF850002
	buffer_store_dword v1, v4, s[96:99], 0 offen               // 00000000EC44: E0701000 80180104

000000000000ec4c <label_C954>:
	s_waitcnt vmcnt(0) expcnt(0) lgkmcnt(0)                    // 00000000EC4C: BF8C0000
	s_endpgm                                                   // 00000000EC50: BF810000
